;; amdgpu-corpus repo=ROCm/rocFFT kind=compiled arch=gfx1201 opt=O3
	.text
	.amdgcn_target "amdgcn-amd-amdhsa--gfx1201"
	.amdhsa_code_object_version 6
	.protected	fft_rtc_back_len273_factors_13_3_7_wgs_52_tpt_13_sp_ip_CI_sbrr_dirReg ; -- Begin function fft_rtc_back_len273_factors_13_3_7_wgs_52_tpt_13_sp_ip_CI_sbrr_dirReg
	.globl	fft_rtc_back_len273_factors_13_3_7_wgs_52_tpt_13_sp_ip_CI_sbrr_dirReg
	.p2align	8
	.type	fft_rtc_back_len273_factors_13_3_7_wgs_52_tpt_13_sp_ip_CI_sbrr_dirReg,@function
fft_rtc_back_len273_factors_13_3_7_wgs_52_tpt_13_sp_ip_CI_sbrr_dirReg: ; @fft_rtc_back_len273_factors_13_3_7_wgs_52_tpt_13_sp_ip_CI_sbrr_dirReg
; %bb.0:
	s_clause 0x2
	s_load_b64 s[12:13], s[0:1], 0x18
	s_load_b128 s[4:7], s[0:1], 0x0
	s_load_b64 s[10:11], s[0:1], 0x50
	v_mul_u32_u24_e32 v1, 0x13b2, v0
	v_mov_b32_e32 v3, 0
	s_delay_alu instid0(VALU_DEP_2) | instskip(SKIP_2) | instid1(VALU_DEP_4)
	v_lshrrev_b32_e32 v9, 16, v1
	v_mov_b32_e32 v1, 0
	v_mov_b32_e32 v2, 0
	;; [unrolled: 1-line block ×3, first 2 shown]
	s_delay_alu instid0(VALU_DEP_4) | instskip(SKIP_3) | instid1(VALU_DEP_1)
	v_lshl_add_u32 v5, ttmp9, 2, v9
	s_wait_kmcnt 0x0
	s_load_b64 s[8:9], s[12:13], 0x0
	v_cmp_lt_u64_e64 s2, s[6:7], 2
	s_and_b32 vcc_lo, exec_lo, s2
	s_cbranch_vccnz .LBB0_8
; %bb.1:
	s_load_b64 s[2:3], s[0:1], 0x10
	v_mov_b32_e32 v1, 0
	v_mov_b32_e32 v2, 0
	s_add_nc_u64 s[14:15], s[12:13], 8
	s_mov_b64 s[16:17], 1
	s_wait_kmcnt 0x0
	s_add_nc_u64 s[18:19], s[2:3], 8
	s_mov_b32 s3, 0
.LBB0_2:                                ; =>This Inner Loop Header: Depth=1
	s_load_b64 s[20:21], s[18:19], 0x0
                                        ; implicit-def: $vgpr7_vgpr8
	s_mov_b32 s2, exec_lo
	s_wait_kmcnt 0x0
	v_or_b32_e32 v4, s21, v6
	s_delay_alu instid0(VALU_DEP_1)
	v_cmpx_ne_u64_e32 0, v[3:4]
	s_wait_alu 0xfffe
	s_xor_b32 s22, exec_lo, s2
	s_cbranch_execz .LBB0_4
; %bb.3:                                ;   in Loop: Header=BB0_2 Depth=1
	s_cvt_f32_u32 s2, s20
	s_cvt_f32_u32 s23, s21
	s_sub_nc_u64 s[26:27], 0, s[20:21]
	s_wait_alu 0xfffe
	s_delay_alu instid0(SALU_CYCLE_1) | instskip(SKIP_1) | instid1(SALU_CYCLE_2)
	s_fmamk_f32 s2, s23, 0x4f800000, s2
	s_wait_alu 0xfffe
	v_s_rcp_f32 s2, s2
	s_delay_alu instid0(TRANS32_DEP_1) | instskip(SKIP_1) | instid1(SALU_CYCLE_2)
	s_mul_f32 s2, s2, 0x5f7ffffc
	s_wait_alu 0xfffe
	s_mul_f32 s23, s2, 0x2f800000
	s_wait_alu 0xfffe
	s_delay_alu instid0(SALU_CYCLE_2) | instskip(SKIP_1) | instid1(SALU_CYCLE_2)
	s_trunc_f32 s23, s23
	s_wait_alu 0xfffe
	s_fmamk_f32 s2, s23, 0xcf800000, s2
	s_cvt_u32_f32 s25, s23
	s_wait_alu 0xfffe
	s_delay_alu instid0(SALU_CYCLE_1) | instskip(SKIP_1) | instid1(SALU_CYCLE_2)
	s_cvt_u32_f32 s24, s2
	s_wait_alu 0xfffe
	s_mul_u64 s[28:29], s[26:27], s[24:25]
	s_wait_alu 0xfffe
	s_mul_hi_u32 s31, s24, s29
	s_mul_i32 s30, s24, s29
	s_mul_hi_u32 s2, s24, s28
	s_mul_i32 s33, s25, s28
	s_wait_alu 0xfffe
	s_add_nc_u64 s[30:31], s[2:3], s[30:31]
	s_mul_hi_u32 s23, s25, s28
	s_mul_hi_u32 s34, s25, s29
	s_add_co_u32 s2, s30, s33
	s_wait_alu 0xfffe
	s_add_co_ci_u32 s2, s31, s23
	s_mul_i32 s28, s25, s29
	s_add_co_ci_u32 s29, s34, 0
	s_wait_alu 0xfffe
	s_add_nc_u64 s[28:29], s[2:3], s[28:29]
	s_wait_alu 0xfffe
	v_add_co_u32 v4, s2, s24, s28
	s_delay_alu instid0(VALU_DEP_1) | instskip(SKIP_1) | instid1(VALU_DEP_1)
	s_cmp_lg_u32 s2, 0
	s_add_co_ci_u32 s25, s25, s29
	v_readfirstlane_b32 s24, v4
	s_wait_alu 0xfffe
	s_delay_alu instid0(VALU_DEP_1)
	s_mul_u64 s[26:27], s[26:27], s[24:25]
	s_wait_alu 0xfffe
	s_mul_hi_u32 s29, s24, s27
	s_mul_i32 s28, s24, s27
	s_mul_hi_u32 s2, s24, s26
	s_mul_i32 s30, s25, s26
	s_wait_alu 0xfffe
	s_add_nc_u64 s[28:29], s[2:3], s[28:29]
	s_mul_hi_u32 s23, s25, s26
	s_mul_hi_u32 s24, s25, s27
	s_wait_alu 0xfffe
	s_add_co_u32 s2, s28, s30
	s_add_co_ci_u32 s2, s29, s23
	s_mul_i32 s26, s25, s27
	s_add_co_ci_u32 s27, s24, 0
	s_wait_alu 0xfffe
	s_add_nc_u64 s[26:27], s[2:3], s[26:27]
	s_wait_alu 0xfffe
	v_add_co_u32 v4, s2, v4, s26
	s_delay_alu instid0(VALU_DEP_1) | instskip(SKIP_1) | instid1(VALU_DEP_1)
	s_cmp_lg_u32 s2, 0
	s_add_co_ci_u32 s2, s25, s27
	v_mul_hi_u32 v14, v5, v4
	s_wait_alu 0xfffe
	v_mad_co_u64_u32 v[7:8], null, v5, s2, 0
	v_mad_co_u64_u32 v[10:11], null, v6, v4, 0
	;; [unrolled: 1-line block ×3, first 2 shown]
	s_delay_alu instid0(VALU_DEP_3) | instskip(SKIP_1) | instid1(VALU_DEP_4)
	v_add_co_u32 v4, vcc_lo, v14, v7
	s_wait_alu 0xfffd
	v_add_co_ci_u32_e32 v7, vcc_lo, 0, v8, vcc_lo
	s_delay_alu instid0(VALU_DEP_2) | instskip(SKIP_1) | instid1(VALU_DEP_2)
	v_add_co_u32 v4, vcc_lo, v4, v10
	s_wait_alu 0xfffd
	v_add_co_ci_u32_e32 v4, vcc_lo, v7, v11, vcc_lo
	s_wait_alu 0xfffd
	v_add_co_ci_u32_e32 v7, vcc_lo, 0, v13, vcc_lo
	s_delay_alu instid0(VALU_DEP_2) | instskip(SKIP_1) | instid1(VALU_DEP_2)
	v_add_co_u32 v4, vcc_lo, v4, v12
	s_wait_alu 0xfffd
	v_add_co_ci_u32_e32 v10, vcc_lo, 0, v7, vcc_lo
	s_delay_alu instid0(VALU_DEP_2) | instskip(SKIP_1) | instid1(VALU_DEP_3)
	v_mul_lo_u32 v11, s21, v4
	v_mad_co_u64_u32 v[7:8], null, s20, v4, 0
	v_mul_lo_u32 v12, s20, v10
	s_delay_alu instid0(VALU_DEP_2) | instskip(NEXT) | instid1(VALU_DEP_2)
	v_sub_co_u32 v7, vcc_lo, v5, v7
	v_add3_u32 v8, v8, v12, v11
	s_delay_alu instid0(VALU_DEP_1) | instskip(SKIP_1) | instid1(VALU_DEP_1)
	v_sub_nc_u32_e32 v11, v6, v8
	s_wait_alu 0xfffd
	v_subrev_co_ci_u32_e64 v11, s2, s21, v11, vcc_lo
	v_add_co_u32 v12, s2, v4, 2
	s_wait_alu 0xf1ff
	v_add_co_ci_u32_e64 v13, s2, 0, v10, s2
	v_sub_co_u32 v14, s2, v7, s20
	v_sub_co_ci_u32_e32 v8, vcc_lo, v6, v8, vcc_lo
	s_wait_alu 0xf1ff
	v_subrev_co_ci_u32_e64 v11, s2, 0, v11, s2
	s_delay_alu instid0(VALU_DEP_3) | instskip(NEXT) | instid1(VALU_DEP_3)
	v_cmp_le_u32_e32 vcc_lo, s20, v14
	v_cmp_eq_u32_e64 s2, s21, v8
	s_wait_alu 0xfffd
	v_cndmask_b32_e64 v14, 0, -1, vcc_lo
	v_cmp_le_u32_e32 vcc_lo, s21, v11
	s_wait_alu 0xfffd
	v_cndmask_b32_e64 v15, 0, -1, vcc_lo
	v_cmp_le_u32_e32 vcc_lo, s20, v7
	;; [unrolled: 3-line block ×3, first 2 shown]
	s_wait_alu 0xfffd
	v_cndmask_b32_e64 v16, 0, -1, vcc_lo
	v_cmp_eq_u32_e32 vcc_lo, s21, v11
	s_wait_alu 0xf1ff
	s_delay_alu instid0(VALU_DEP_2)
	v_cndmask_b32_e64 v7, v16, v7, s2
	s_wait_alu 0xfffd
	v_cndmask_b32_e32 v11, v15, v14, vcc_lo
	v_add_co_u32 v14, vcc_lo, v4, 1
	s_wait_alu 0xfffd
	v_add_co_ci_u32_e32 v15, vcc_lo, 0, v10, vcc_lo
	s_delay_alu instid0(VALU_DEP_3) | instskip(SKIP_1) | instid1(VALU_DEP_2)
	v_cmp_ne_u32_e32 vcc_lo, 0, v11
	s_wait_alu 0xfffd
	v_dual_cndmask_b32 v8, v15, v13 :: v_dual_cndmask_b32 v11, v14, v12
	v_cmp_ne_u32_e32 vcc_lo, 0, v7
	s_wait_alu 0xfffd
	s_delay_alu instid0(VALU_DEP_2)
	v_dual_cndmask_b32 v8, v10, v8 :: v_dual_cndmask_b32 v7, v4, v11
.LBB0_4:                                ;   in Loop: Header=BB0_2 Depth=1
	s_wait_alu 0xfffe
	s_and_not1_saveexec_b32 s2, s22
	s_cbranch_execz .LBB0_6
; %bb.5:                                ;   in Loop: Header=BB0_2 Depth=1
	v_cvt_f32_u32_e32 v4, s20
	s_sub_co_i32 s22, 0, s20
	s_delay_alu instid0(VALU_DEP_1) | instskip(NEXT) | instid1(TRANS32_DEP_1)
	v_rcp_iflag_f32_e32 v4, v4
	v_mul_f32_e32 v4, 0x4f7ffffe, v4
	s_delay_alu instid0(VALU_DEP_1) | instskip(SKIP_1) | instid1(VALU_DEP_1)
	v_cvt_u32_f32_e32 v4, v4
	s_wait_alu 0xfffe
	v_mul_lo_u32 v7, s22, v4
	s_delay_alu instid0(VALU_DEP_1) | instskip(NEXT) | instid1(VALU_DEP_1)
	v_mul_hi_u32 v7, v4, v7
	v_add_nc_u32_e32 v4, v4, v7
	s_delay_alu instid0(VALU_DEP_1) | instskip(NEXT) | instid1(VALU_DEP_1)
	v_mul_hi_u32 v4, v5, v4
	v_mul_lo_u32 v7, v4, s20
	v_add_nc_u32_e32 v8, 1, v4
	s_delay_alu instid0(VALU_DEP_2) | instskip(NEXT) | instid1(VALU_DEP_1)
	v_sub_nc_u32_e32 v7, v5, v7
	v_subrev_nc_u32_e32 v10, s20, v7
	v_cmp_le_u32_e32 vcc_lo, s20, v7
	s_wait_alu 0xfffd
	s_delay_alu instid0(VALU_DEP_2) | instskip(NEXT) | instid1(VALU_DEP_1)
	v_dual_cndmask_b32 v7, v7, v10 :: v_dual_cndmask_b32 v4, v4, v8
	v_cmp_le_u32_e32 vcc_lo, s20, v7
	s_delay_alu instid0(VALU_DEP_2) | instskip(SKIP_1) | instid1(VALU_DEP_1)
	v_add_nc_u32_e32 v8, 1, v4
	s_wait_alu 0xfffd
	v_dual_cndmask_b32 v7, v4, v8 :: v_dual_mov_b32 v8, v3
.LBB0_6:                                ;   in Loop: Header=BB0_2 Depth=1
	s_wait_alu 0xfffe
	s_or_b32 exec_lo, exec_lo, s2
	s_load_b64 s[22:23], s[14:15], 0x0
	s_delay_alu instid0(VALU_DEP_1)
	v_mul_lo_u32 v4, v8, s20
	v_mul_lo_u32 v12, v7, s21
	v_mad_co_u64_u32 v[10:11], null, v7, s20, 0
	s_add_nc_u64 s[16:17], s[16:17], 1
	s_add_nc_u64 s[14:15], s[14:15], 8
	s_wait_alu 0xfffe
	v_cmp_ge_u64_e64 s2, s[16:17], s[6:7]
	s_add_nc_u64 s[18:19], s[18:19], 8
	s_delay_alu instid0(VALU_DEP_2) | instskip(NEXT) | instid1(VALU_DEP_3)
	v_add3_u32 v4, v11, v12, v4
	v_sub_co_u32 v5, vcc_lo, v5, v10
	s_wait_alu 0xfffd
	s_delay_alu instid0(VALU_DEP_2) | instskip(SKIP_3) | instid1(VALU_DEP_2)
	v_sub_co_ci_u32_e32 v4, vcc_lo, v6, v4, vcc_lo
	s_and_b32 vcc_lo, exec_lo, s2
	s_wait_kmcnt 0x0
	v_mul_lo_u32 v6, s23, v5
	v_mul_lo_u32 v4, s22, v4
	v_mad_co_u64_u32 v[1:2], null, s22, v5, v[1:2]
	s_delay_alu instid0(VALU_DEP_1)
	v_add3_u32 v2, v6, v2, v4
	s_wait_alu 0xfffe
	s_cbranch_vccnz .LBB0_9
; %bb.7:                                ;   in Loop: Header=BB0_2 Depth=1
	v_dual_mov_b32 v5, v7 :: v_dual_mov_b32 v6, v8
	s_branch .LBB0_2
.LBB0_8:
	v_dual_mov_b32 v8, v6 :: v_dual_mov_b32 v7, v5
.LBB0_9:
	s_lshl_b64 s[2:3], s[6:7], 3
	v_mul_hi_u32 v3, 0x13b13b14, v0
	s_wait_alu 0xfffe
	s_add_nc_u64 s[2:3], s[12:13], s[2:3]
                                        ; implicit-def: $vgpr76
	s_load_b64 s[2:3], s[2:3], 0x0
	s_load_b64 s[0:1], s[0:1], 0x20
	s_delay_alu instid0(VALU_DEP_1) | instskip(NEXT) | instid1(VALU_DEP_1)
	v_mul_u32_u24_e32 v3, 13, v3
	v_sub_nc_u32_e32 v72, v0, v3
	v_and_b32_e32 v0, 3, v9
	s_delay_alu instid0(VALU_DEP_2)
	v_add_nc_u32_e32 v69, 13, v72
	s_wait_kmcnt 0x0
	v_mul_lo_u32 v4, s2, v8
	v_mul_lo_u32 v5, s3, v7
	v_mad_co_u64_u32 v[1:2], null, s2, v7, v[1:2]
	v_cmp_gt_u64_e32 vcc_lo, s[0:1], v[7:8]
	v_cmp_le_u64_e64 s0, s[0:1], v[7:8]
	s_delay_alu instid0(VALU_DEP_3) | instskip(NEXT) | instid1(VALU_DEP_2)
	v_add3_u32 v2, v5, v2, v4
	s_and_saveexec_b32 s1, s0
	s_wait_alu 0xfffe
	s_xor_b32 s0, exec_lo, s1
; %bb.10:
	v_add_nc_u32_e32 v76, 13, v72
; %bb.11:
	s_wait_alu 0xfffe
	s_or_saveexec_b32 s1, s0
	v_mul_u32_u24_e32 v3, 0x111, v0
	v_lshlrev_b64_e32 v[48:49], 3, v[1:2]
	v_lshlrev_b32_e32 v0, 3, v72
	v_add_nc_u32_e32 v71, 26, v72
	v_add_nc_u32_e32 v70, 39, v72
	v_lshlrev_b32_e32 v75, 3, v3
	v_add_nc_u32_e32 v68, 52, v72
	v_add_nc_u32_e32 v67, 0x41, v72
	;; [unrolled: 1-line block ×12, first 2 shown]
	v_or_b32_e32 v56, 0xd0, v72
	v_add_nc_u32_e32 v55, 0xdd, v72
	v_add_nc_u32_e32 v54, 0xea, v72
	;; [unrolled: 1-line block ×4, first 2 shown]
	s_wait_alu 0xfffe
	s_xor_b32 exec_lo, exec_lo, s1
	s_cbranch_execz .LBB0_13
; %bb.12:
	v_mad_co_u64_u32 v[1:2], null, s8, v72, 0
	v_mad_co_u64_u32 v[3:4], null, s8, v69, 0
	;; [unrolled: 1-line block ×5, first 2 shown]
	s_delay_alu instid0(VALU_DEP_4) | instskip(NEXT) | instid1(VALU_DEP_4)
	v_mad_co_u64_u32 v[9:10], null, s9, v72, v[2:3]
	v_mad_co_u64_u32 v[10:11], null, s9, v69, v[4:5]
	s_delay_alu instid0(VALU_DEP_4) | instskip(SKIP_1) | instid1(VALU_DEP_4)
	v_mad_co_u64_u32 v[11:12], null, s9, v71, v[6:7]
	v_mad_co_u64_u32 v[13:14], null, s8, v66, 0
	v_mov_b32_e32 v2, v9
	v_mad_co_u64_u32 v[8:9], null, s9, v70, v[8:9]
	v_mov_b32_e32 v4, v10
	;; [unrolled: 2-line block ×3, first 2 shown]
	v_mad_co_u64_u32 v[15:16], null, s8, v64, 0
	v_mad_co_u64_u32 v[31:32], null, s8, v59, 0
	v_mad_co_u64_u32 v[23:24], null, s8, v62, 0
	v_mad_co_u64_u32 v[10:11], null, s9, v68, v[10:11]
	v_mad_co_u64_u32 v[11:12], null, s8, v67, 0
	v_mad_co_u64_u32 v[25:26], null, s8, v61, 0
	v_add_co_u32 v46, s0, s10, v48
	s_wait_alu 0xf1ff
	v_add_co_ci_u32_e64 v47, s0, s11, v49, s0
	s_delay_alu instid0(VALU_DEP_4)
	v_mad_co_u64_u32 v[17:18], null, s9, v67, v[12:13]
	v_lshlrev_b64_e32 v[7:8], 3, v[7:8]
	v_lshlrev_b64_e32 v[9:10], 3, v[9:10]
	v_mad_co_u64_u32 v[33:34], null, s8, v57, 0
	v_mov_b32_e32 v76, v69
	v_mov_b32_e32 v12, v17
	v_mad_co_u64_u32 v[17:18], null, s9, v66, v[14:15]
	s_delay_alu instid0(VALU_DEP_2) | instskip(NEXT) | instid1(VALU_DEP_2)
	v_lshlrev_b64_e32 v[11:12], 3, v[11:12]
	v_mad_co_u64_u32 v[18:19], null, s9, v64, v[16:17]
	v_mad_co_u64_u32 v[19:20], null, s8, v65, 0
	v_mov_b32_e32 v14, v17
	s_delay_alu instid0(VALU_DEP_3) | instskip(NEXT) | instid1(VALU_DEP_2)
	v_mov_b32_e32 v16, v18
	v_lshlrev_b64_e32 v[13:14], 3, v[13:14]
	s_delay_alu instid0(VALU_DEP_4) | instskip(SKIP_1) | instid1(VALU_DEP_4)
	v_mov_b32_e32 v17, v20
	v_lshlrev_b64_e32 v[1:2], 3, v[1:2]
	v_lshlrev_b64_e32 v[15:16], 3, v[15:16]
	s_delay_alu instid0(VALU_DEP_3) | instskip(NEXT) | instid1(VALU_DEP_3)
	v_mad_co_u64_u32 v[17:18], null, s9, v65, v[17:18]
	v_add_co_u32 v1, s0, v46, v1
	s_wait_alu 0xf1ff
	s_delay_alu instid0(VALU_DEP_4) | instskip(NEXT) | instid1(VALU_DEP_3)
	v_add_co_ci_u32_e64 v2, s0, v47, v2, s0
	v_dual_mov_b32 v20, v17 :: v_dual_mov_b32 v17, v22
	v_lshlrev_b64_e32 v[3:4], 3, v[3:4]
	s_delay_alu instid0(VALU_DEP_2) | instskip(NEXT) | instid1(VALU_DEP_3)
	v_lshlrev_b64_e32 v[19:20], 3, v[19:20]
	v_mad_co_u64_u32 v[17:18], null, s9, v63, v[17:18]
	v_mov_b32_e32 v18, v24
	v_mov_b32_e32 v24, v26
	v_add_co_u32 v3, s0, v46, v3
	s_wait_alu 0xf1ff
	v_add_co_ci_u32_e64 v4, s0, v47, v4, s0
	s_delay_alu instid0(VALU_DEP_3) | instskip(SKIP_3) | instid1(VALU_DEP_3)
	v_mad_co_u64_u32 v[26:27], null, s9, v61, v[24:25]
	v_mov_b32_e32 v22, v17
	v_mad_co_u64_u32 v[17:18], null, s9, v62, v[18:19]
	v_mad_co_u64_u32 v[27:28], null, s8, v60, 0
	v_lshlrev_b64_e32 v[21:22], 3, v[21:22]
	s_delay_alu instid0(VALU_DEP_2) | instskip(SKIP_1) | instid1(VALU_DEP_1)
	v_dual_mov_b32 v24, v17 :: v_dual_mov_b32 v17, v28
	v_lshlrev_b64_e32 v[5:6], 3, v[5:6]
	v_add_co_u32 v5, s0, v46, v5
	s_wait_alu 0xf1ff
	s_delay_alu instid0(VALU_DEP_2)
	v_add_co_ci_u32_e64 v6, s0, v47, v6, s0
	v_add_co_u32 v7, s0, v46, v7
	s_wait_alu 0xf1ff
	v_add_co_ci_u32_e64 v8, s0, v47, v8, s0
	v_add_co_u32 v9, s0, v46, v9
	s_wait_alu 0xf1ff
	;; [unrolled: 3-line block ×6, first 2 shown]
	v_add_co_ci_u32_e64 v19, s0, v47, v20, s0
	v_add_co_u32 v20, s0, v46, v21
	s_delay_alu instid0(VALU_DEP_3)
	v_mad_co_u64_u32 v[28:29], null, s9, v60, v[17:18]
	v_mad_co_u64_u32 v[29:30], null, s8, v58, 0
	s_wait_alu 0xf1ff
	v_add_co_ci_u32_e64 v21, s0, v47, v22, s0
	v_lshlrev_b64_e32 v[22:23], 3, v[23:24]
	v_lshlrev_b64_e32 v[24:25], 3, v[25:26]
	;; [unrolled: 1-line block ×3, first 2 shown]
	s_clause 0x3
	global_load_b64 v[1:2], v[1:2], off
	global_load_b64 v[3:4], v[3:4], off
	;; [unrolled: 1-line block ×4, first 2 shown]
	v_mov_b32_e32 v17, v30
	s_clause 0x3
	global_load_b64 v[9:10], v[9:10], off
	global_load_b64 v[11:12], v[11:12], off
	;; [unrolled: 1-line block ×4, first 2 shown]
	v_add_co_u32 v22, s0, v46, v22
	s_wait_alu 0xf1ff
	v_add_co_ci_u32_e64 v23, s0, v47, v23, s0
	v_add_co_u32 v24, s0, v46, v24
	v_mad_co_u64_u32 v[35:36], null, s9, v58, v[17:18]
	s_wait_alu 0xf1ff
	v_add_co_ci_u32_e64 v25, s0, v47, v25, s0
	s_clause 0x3
	global_load_b64 v[17:18], v[18:19], off
	global_load_b64 v[19:20], v[20:21], off
	;; [unrolled: 1-line block ×4, first 2 shown]
	v_dual_mov_b32 v25, v32 :: v_dual_mov_b32 v28, v34
	v_mov_b32_e32 v30, v35
	s_delay_alu instid0(VALU_DEP_2) | instskip(SKIP_1) | instid1(VALU_DEP_4)
	v_mad_co_u64_u32 v[34:35], null, s9, v59, v[25:26]
	v_add_co_u32 v25, s0, v46, v26
	v_mad_co_u64_u32 v[35:36], null, s9, v57, v[28:29]
	s_wait_alu 0xf1ff
	v_add_co_ci_u32_e64 v26, s0, v47, v27, s0
	s_delay_alu instid0(VALU_DEP_4) | instskip(SKIP_3) | instid1(VALU_DEP_4)
	v_mov_b32_e32 v32, v34
	v_lshlrev_b64_e32 v[27:28], 3, v[29:30]
	v_mad_co_u64_u32 v[29:30], null, s8, v56, 0
	v_mov_b32_e32 v34, v35
	v_lshlrev_b64_e32 v[31:32], 3, v[31:32]
	v_mad_co_u64_u32 v[35:36], null, s8, v55, 0
	v_add_co_u32 v27, s0, v46, v27
	s_delay_alu instid0(VALU_DEP_4) | instskip(NEXT) | instid1(VALU_DEP_4)
	v_lshlrev_b64_e32 v[33:34], 3, v[33:34]
	v_mad_co_u64_u32 v[37:38], null, s9, v56, v[30:31]
	v_mad_co_u64_u32 v[38:39], null, s8, v54, 0
	s_wait_alu 0xf1ff
	v_add_co_ci_u32_e64 v28, s0, v47, v28, s0
	v_add_co_u32 v31, s0, v46, v31
	s_delay_alu instid0(VALU_DEP_4)
	v_mov_b32_e32 v30, v37
	s_wait_alu 0xf1ff
	v_add_co_ci_u32_e64 v32, s0, v47, v32, s0
	v_mov_b32_e32 v37, v39
	v_add_co_u32 v33, s0, v46, v33
	v_lshlrev_b64_e32 v[29:30], 3, v[29:30]
	s_wait_alu 0xf1ff
	v_add_co_ci_u32_e64 v34, s0, v47, v34, s0
	v_mad_co_u64_u32 v[39:40], null, s9, v55, v[36:37]
	v_mad_co_u64_u32 v[40:41], null, s8, v53, 0
	;; [unrolled: 1-line block ×4, first 2 shown]
	s_delay_alu instid0(VALU_DEP_4) | instskip(SKIP_3) | instid1(VALU_DEP_4)
	v_mov_b32_e32 v36, v39
	v_add_co_u32 v29, s0, v46, v29
	v_mov_b32_e32 v37, v41
	v_mov_b32_e32 v39, v42
	v_lshlrev_b64_e32 v[35:36], 3, v[35:36]
	s_wait_alu 0xf1ff
	v_add_co_ci_u32_e64 v30, s0, v47, v30, s0
	v_mad_co_u64_u32 v[41:42], null, s9, v53, v[37:38]
	v_mov_b32_e32 v37, v44
	s_delay_alu instid0(VALU_DEP_4) | instskip(SKIP_2) | instid1(VALU_DEP_3)
	v_add_co_u32 v35, s0, v46, v35
	s_wait_alu 0xf1ff
	v_add_co_ci_u32_e64 v36, s0, v47, v36, s0
	v_mad_co_u64_u32 v[44:45], null, s9, v52, v[37:38]
	v_lshlrev_b64_e32 v[37:38], 3, v[38:39]
	v_lshlrev_b64_e32 v[39:40], 3, v[40:41]
	s_clause 0x3
	global_load_b64 v[25:26], v[25:26], off
	global_load_b64 v[27:28], v[27:28], off
	;; [unrolled: 1-line block ×4, first 2 shown]
	v_add_co_u32 v37, s0, v46, v37
	v_lshlrev_b64_e32 v[41:42], 3, v[43:44]
	s_wait_alu 0xf1ff
	v_add_co_ci_u32_e64 v38, s0, v47, v38, s0
	v_add_co_u32 v39, s0, v46, v39
	s_wait_alu 0xf1ff
	v_add_co_ci_u32_e64 v40, s0, v47, v40, s0
	v_add_co_u32 v41, s0, v46, v41
	s_wait_alu 0xf1ff
	v_add_co_ci_u32_e64 v42, s0, v47, v42, s0
	s_clause 0x4
	global_load_b64 v[29:30], v[29:30], off
	global_load_b64 v[35:36], v[35:36], off
	;; [unrolled: 1-line block ×5, first 2 shown]
	v_add3_u32 v43, 0, v75, v0
	s_wait_loadcnt 0x13
	ds_store_2addr_b64 v43, v[1:2], v[3:4] offset1:13
	s_wait_loadcnt 0x11
	ds_store_2addr_b64 v43, v[5:6], v[7:8] offset0:26 offset1:39
	s_wait_loadcnt 0xf
	ds_store_2addr_b64 v43, v[9:10], v[11:12] offset0:52 offset1:65
	s_wait_loadcnt 0xd
	ds_store_2addr_b64 v43, v[13:14], v[15:16] offset0:78 offset1:91
	s_wait_loadcnt 0xb
	ds_store_2addr_b64 v43, v[17:18], v[19:20] offset0:104 offset1:117
	s_wait_loadcnt 0x9
	ds_store_2addr_b64 v43, v[21:22], v[23:24] offset0:130 offset1:143
	s_wait_loadcnt 0x7
	ds_store_2addr_b64 v43, v[25:26], v[27:28] offset0:156 offset1:169
	s_wait_loadcnt 0x5
	ds_store_2addr_b64 v43, v[31:32], v[33:34] offset0:182 offset1:195
	s_wait_loadcnt 0x3
	ds_store_2addr_b64 v43, v[29:30], v[35:36] offset0:208 offset1:221
	s_wait_loadcnt 0x1
	ds_store_2addr_b64 v43, v[37:38], v[39:40] offset0:234 offset1:247
	s_wait_loadcnt 0x0
	ds_store_b64 v43, v[41:42] offset:2080
.LBB0_13:
	s_or_b32 exec_lo, exec_lo, s1
	v_add_nc_u32_e32 v1, 0, v0
	v_add_nc_u32_e32 v77, 0, v75
	global_wb scope:SCOPE_SE
	s_wait_dscnt 0x0
	s_barrier_signal -1
	s_barrier_wait -1
	v_add_nc_u32_e32 v74, v1, v75
	v_add_nc_u32_e32 v73, v77, v0
	global_inv scope:SCOPE_SE
	s_mov_b32 s1, exec_lo
	ds_load_2addr_b64 v[0:3], v74 offset0:13 offset1:21
	ds_load_b64 v[78:79], v73
	ds_load_2addr_b64 v[4:7], v74 offset0:244 offset1:252
	ds_load_2addr_b64 v[44:47], v74 offset0:34 offset1:42
	;; [unrolled: 1-line block ×11, first 2 shown]
	ds_load_b64 v[50:51], v74 offset:2120
	global_wb scope:SCOPE_SE
	s_wait_dscnt 0x0
	s_barrier_signal -1
	s_barrier_wait -1
	global_inv scope:SCOPE_SE
	v_add_f32_e32 v80, v78, v2
	v_add_f32_e32 v84, v7, v3
	v_dual_add_f32 v81, v79, v3 :: v_dual_add_f32 v82, v6, v2
	v_sub_f32_e32 v85, v2, v6
	s_delay_alu instid0(VALU_DEP_4) | instskip(SKIP_1) | instid1(VALU_DEP_2)
	v_dual_add_f32 v2, v80, v46 :: v_dual_sub_f32 v83, v3, v7
	v_mad_u32_u24 v77, 0x68, v72, v77
	v_dual_add_f32 v2, v2, v42 :: v_dual_add_f32 v3, v81, v47
	v_add_f32_e32 v105, v10, v46
	s_delay_alu instid0(VALU_DEP_2) | instskip(SKIP_1) | instid1(VALU_DEP_2)
	v_dual_sub_f32 v103, v47, v11 :: v_dual_add_f32 v2, v2, v38
	v_mul_f32_e32 v81, 0x3f62ad3f, v84
	v_mul_f32_e32 v106, 0xbf52af12, v103
	s_delay_alu instid0(VALU_DEP_3) | instskip(NEXT) | instid1(VALU_DEP_3)
	v_dual_add_f32 v2, v2, v34 :: v_dual_add_f32 v3, v3, v43
	v_fmamk_f32 v94, v85, 0x3eedf032, v81
	v_mul_f32_e32 v87, 0x3f116cb1, v84
	v_dual_mul_f32 v80, 0xbeedf032, v83 :: v_dual_fmac_f32 v81, 0xbeedf032, v85
	s_delay_alu instid0(VALU_DEP_4) | instskip(NEXT) | instid1(VALU_DEP_3)
	v_dual_add_f32 v2, v2, v30 :: v_dual_add_f32 v3, v3, v39
	v_fmamk_f32 v96, v85, 0x3f52af12, v87
	v_mul_f32_e32 v89, 0x3df6dbef, v84
	s_delay_alu instid0(VALU_DEP_4) | instskip(NEXT) | instid1(VALU_DEP_4)
	v_dual_fmamk_f32 v93, v82, 0x3f62ad3f, v80 :: v_dual_add_f32 v94, v79, v94
	v_dual_add_f32 v2, v2, v26 :: v_dual_add_f32 v3, v3, v35
	s_delay_alu instid0(VALU_DEP_3) | instskip(SKIP_2) | instid1(VALU_DEP_4)
	v_fmamk_f32 v98, v85, 0x3f7e222b, v89
	v_mul_f32_e32 v91, 0xbeb58ec6, v84
	v_fma_f32 v80, 0x3f62ad3f, v82, -v80
	v_dual_add_f32 v2, v2, v22 :: v_dual_add_f32 v3, v3, v31
	v_dual_mul_f32 v86, 0xbf52af12, v83 :: v_dual_fmac_f32 v87, 0xbf52af12, v85
	s_delay_alu instid0(VALU_DEP_4) | instskip(NEXT) | instid1(VALU_DEP_3)
	v_fmamk_f32 v100, v85, 0x3f6f5d39, v91
	v_dual_add_f32 v80, v78, v80 :: v_dual_add_f32 v3, v3, v27
	s_delay_alu instid0(VALU_DEP_3) | instskip(SKIP_1) | instid1(VALU_DEP_3)
	v_dual_fmamk_f32 v95, v82, 0x3f116cb1, v86 :: v_dual_add_f32 v96, v79, v96
	v_fma_f32 v86, 0x3f116cb1, v82, -v86
	v_dual_add_f32 v2, v2, v18 :: v_dual_add_f32 v3, v3, v23
	v_dual_mul_f32 v88, 0xbf7e222b, v83 :: v_dual_fmac_f32 v89, 0xbf7e222b, v85
	s_delay_alu instid0(VALU_DEP_3) | instskip(SKIP_1) | instid1(VALU_DEP_4)
	v_add_f32_e32 v86, v78, v86
	v_dual_mul_f32 v90, 0xbf6f5d39, v83 :: v_dual_add_f32 v93, v78, v93
	v_dual_add_f32 v3, v3, v19 :: v_dual_add_f32 v2, v2, v14
	s_delay_alu instid0(VALU_DEP_4) | instskip(SKIP_1) | instid1(VALU_DEP_3)
	v_dual_fmamk_f32 v97, v82, 0x3df6dbef, v88 :: v_dual_add_f32 v98, v79, v98
	v_fma_f32 v88, 0x3df6dbef, v82, -v88
	v_add_f32_e32 v3, v3, v15
	s_delay_alu instid0(VALU_DEP_4) | instskip(SKIP_1) | instid1(VALU_DEP_3)
	v_dual_add_f32 v87, v79, v87 :: v_dual_add_f32 v2, v2, v10
	v_dual_mul_f32 v92, 0xbf29c268, v83 :: v_dual_add_f32 v81, v79, v81
	v_dual_add_f32 v3, v3, v11 :: v_dual_add_f32 v88, v78, v88
	s_delay_alu instid0(VALU_DEP_3) | instskip(SKIP_1) | instid1(VALU_DEP_3)
	v_dual_add_f32 v89, v79, v89 :: v_dual_add_f32 v2, v2, v6
	v_fma_f32 v6, 0xbeb58ec6, v82, -v90
	v_add_f32_e32 v3, v3, v7
	v_mul_f32_e32 v7, 0xbf3f9e67, v84
	v_dual_fmamk_f32 v99, v82, 0xbeb58ec6, v90 :: v_dual_add_f32 v90, v79, v100
	v_fmamk_f32 v100, v82, 0xbf3f9e67, v92
	v_dual_fmac_f32 v91, 0xbf6f5d39, v85 :: v_dual_add_f32 v6, v78, v6
	v_mul_f32_e32 v83, 0xbe750f2a, v83
	v_fma_f32 v92, 0xbf3f9e67, v82, -v92
	v_fmamk_f32 v101, v85, 0x3f29c268, v7
	v_dual_add_f32 v95, v78, v95 :: v_dual_mul_f32 v84, 0xbf788fa5, v84
	v_dual_add_f32 v100, v78, v100 :: v_dual_add_f32 v91, v79, v91
	v_fmamk_f32 v102, v82, 0xbf788fa5, v83
	v_dual_fmac_f32 v7, 0xbf29c268, v85 :: v_dual_sub_f32 v10, v46, v10
	v_dual_add_f32 v92, v78, v92 :: v_dual_add_f32 v101, v79, v101
	v_add_f32_e32 v11, v11, v47
	v_dual_add_f32 v97, v78, v97 :: v_dual_fmamk_f32 v104, v85, 0x3e750f2a, v84
	v_dual_add_f32 v99, v78, v99 :: v_dual_fmac_f32 v84, 0xbe750f2a, v85
	v_add_f32_e32 v102, v78, v102
	v_fma_f32 v47, 0xbf788fa5, v82, -v83
	v_mul_f32_e32 v82, 0x3f116cb1, v11
	v_dual_fmamk_f32 v46, v105, 0x3f116cb1, v106 :: v_dual_add_f32 v7, v79, v7
	v_add_f32_e32 v83, v79, v104
	s_delay_alu instid0(VALU_DEP_4) | instskip(NEXT) | instid1(VALU_DEP_3)
	v_dual_add_f32 v47, v78, v47 :: v_dual_add_f32 v78, v79, v84
	v_add_f32_e32 v46, v46, v93
	v_mul_f32_e32 v84, 0xbf6f5d39, v103
	v_fma_f32 v85, 0x3f116cb1, v105, -v106
	v_fmamk_f32 v79, v10, 0x3f52af12, v82
	v_fmac_f32_e32 v82, 0xbf52af12, v10
	v_mul_f32_e32 v93, 0xbeb58ec6, v11
	v_mul_f32_e32 v104, 0xbf3f9e67, v11
	s_delay_alu instid0(VALU_DEP_4) | instskip(NEXT) | instid1(VALU_DEP_4)
	v_dual_add_f32 v80, v85, v80 :: v_dual_add_f32 v79, v79, v94
	v_dual_fmamk_f32 v94, v105, 0xbeb58ec6, v84 :: v_dual_add_f32 v81, v82, v81
	s_delay_alu instid0(VALU_DEP_4) | instskip(SKIP_2) | instid1(VALU_DEP_4)
	v_fmamk_f32 v82, v10, 0x3f6f5d39, v93
	v_mul_f32_e32 v85, 0xbe750f2a, v103
	v_fma_f32 v84, 0xbeb58ec6, v105, -v84
	v_dual_add_f32 v94, v94, v95 :: v_dual_fmac_f32 v93, 0xbf6f5d39, v10
	s_delay_alu instid0(VALU_DEP_3) | instskip(NEXT) | instid1(VALU_DEP_3)
	v_dual_add_f32 v82, v82, v96 :: v_dual_fmamk_f32 v95, v105, 0xbf788fa5, v85
	v_add_f32_e32 v84, v84, v86
	v_mul_f32_e32 v96, 0xbf788fa5, v11
	v_fma_f32 v85, 0xbf788fa5, v105, -v85
	s_delay_alu instid0(VALU_DEP_4) | instskip(NEXT) | instid1(VALU_DEP_3)
	v_dual_add_f32 v86, v93, v87 :: v_dual_add_f32 v93, v95, v97
	v_fmamk_f32 v95, v10, 0x3e750f2a, v96
	s_delay_alu instid0(VALU_DEP_3) | instskip(NEXT) | instid1(VALU_DEP_1)
	v_dual_fmac_f32 v96, 0xbe750f2a, v10 :: v_dual_add_f32 v85, v85, v88
	v_dual_mul_f32 v87, 0x3f29c268, v103 :: v_dual_add_f32 v88, v96, v89
	v_fmamk_f32 v96, v10, 0xbf29c268, v104
	s_delay_alu instid0(VALU_DEP_2) | instskip(SKIP_1) | instid1(VALU_DEP_2)
	v_fmamk_f32 v97, v105, 0xbf3f9e67, v87
	v_fma_f32 v87, 0xbf3f9e67, v105, -v87
	v_dual_add_f32 v90, v96, v90 :: v_dual_add_f32 v89, v97, v99
	v_dual_add_f32 v95, v95, v98 :: v_dual_mul_f32 v98, 0x3df6dbef, v11
	s_delay_alu instid0(VALU_DEP_3) | instskip(SKIP_1) | instid1(VALU_DEP_3)
	v_dual_mul_f32 v97, 0x3f7e222b, v103 :: v_dual_add_f32 v6, v87, v6
	v_mul_f32_e32 v11, 0x3f62ad3f, v11
	v_fmamk_f32 v87, v10, 0xbf7e222b, v98
	v_fmac_f32_e32 v104, 0x3f29c268, v10
	s_delay_alu instid0(VALU_DEP_2) | instskip(NEXT) | instid1(VALU_DEP_2)
	v_dual_fmac_f32 v98, 0x3f7e222b, v10 :: v_dual_add_f32 v87, v87, v101
	v_dual_fmamk_f32 v96, v105, 0x3df6dbef, v97 :: v_dual_add_f32 v91, v104, v91
	v_fma_f32 v97, 0x3df6dbef, v105, -v97
	s_delay_alu instid0(VALU_DEP_2) | instskip(NEXT) | instid1(VALU_DEP_2)
	v_dual_mul_f32 v99, 0x3eedf032, v103 :: v_dual_add_f32 v96, v96, v100
	v_add_f32_e32 v92, v97, v92
	s_delay_alu instid0(VALU_DEP_2) | instskip(SKIP_2) | instid1(VALU_DEP_3)
	v_dual_fmamk_f32 v100, v105, 0x3f62ad3f, v99 :: v_dual_sub_f32 v97, v43, v15
	v_add_f32_e32 v7, v98, v7
	v_add_f32_e32 v101, v14, v42
	v_dual_add_f32 v15, v15, v43 :: v_dual_add_f32 v98, v100, v102
	s_delay_alu instid0(VALU_DEP_4)
	v_mul_f32_e32 v102, 0xbf7e222b, v97
	v_fmamk_f32 v100, v10, 0xbeedf032, v11
	v_fma_f32 v43, 0x3f62ad3f, v105, -v99
	v_fmac_f32_e32 v11, 0x3eedf032, v10
	v_sub_f32_e32 v10, v42, v14
	v_fmamk_f32 v14, v101, 0x3df6dbef, v102
	v_mul_f32_e32 v42, 0x3df6dbef, v15
	v_add_f32_e32 v83, v100, v83
	v_add_f32_e32 v43, v43, v47
	s_delay_alu instid0(VALU_DEP_4) | instskip(NEXT) | instid1(VALU_DEP_4)
	v_dual_mul_f32 v47, 0xbe750f2a, v97 :: v_dual_add_f32 v14, v14, v46
	v_fmamk_f32 v46, v10, 0x3f7e222b, v42
	v_mul_f32_e32 v100, 0x3f62ad3f, v15
	s_delay_alu instid0(VALU_DEP_2)
	v_dual_add_f32 v46, v46, v79 :: v_dual_add_f32 v11, v11, v78
	v_fma_f32 v78, 0x3df6dbef, v101, -v102
	v_mul_f32_e32 v99, 0xbf788fa5, v15
	v_fmamk_f32 v79, v101, 0xbf788fa5, v47
	v_fma_f32 v47, 0xbf788fa5, v101, -v47
	v_fmac_f32_e32 v42, 0xbf7e222b, v10
	v_add_f32_e32 v78, v78, v80
	s_delay_alu instid0(VALU_DEP_3) | instskip(NEXT) | instid1(VALU_DEP_3)
	v_dual_fmamk_f32 v80, v10, 0x3e750f2a, v99 :: v_dual_add_f32 v47, v47, v84
	v_add_f32_e32 v42, v42, v81
	s_delay_alu instid0(VALU_DEP_2) | instskip(NEXT) | instid1(VALU_DEP_1)
	v_dual_mul_f32 v81, 0x3f6f5d39, v97 :: v_dual_add_f32 v80, v80, v82
	v_dual_add_f32 v79, v79, v94 :: v_dual_fmamk_f32 v82, v101, 0xbeb58ec6, v81
	v_fmac_f32_e32 v99, 0xbe750f2a, v10
	v_fma_f32 v81, 0xbeb58ec6, v101, -v81
	v_mul_f32_e32 v94, 0xbeb58ec6, v15
	s_delay_alu instid0(VALU_DEP_4) | instskip(NEXT) | instid1(VALU_DEP_3)
	v_add_f32_e32 v82, v82, v93
	v_dual_add_f32 v81, v81, v85 :: v_dual_add_f32 v84, v99, v86
	s_delay_alu instid0(VALU_DEP_3) | instskip(SKIP_1) | instid1(VALU_DEP_2)
	v_fmamk_f32 v93, v10, 0xbf6f5d39, v94
	v_mul_f32_e32 v86, 0x3eedf032, v97
	v_dual_fmac_f32 v94, 0x3f6f5d39, v10 :: v_dual_add_f32 v93, v93, v95
	s_delay_alu instid0(VALU_DEP_2) | instskip(NEXT) | instid1(VALU_DEP_2)
	v_fmamk_f32 v99, v101, 0x3f62ad3f, v86
	v_add_f32_e32 v85, v94, v88
	v_mul_f32_e32 v95, 0x3f116cb1, v15
	v_mul_f32_e32 v94, 0xbf52af12, v97
	v_mul_f32_e32 v97, 0xbf29c268, v97
	v_dual_add_f32 v88, v99, v89 :: v_dual_fmamk_f32 v89, v10, 0xbeedf032, v100
	s_delay_alu instid0(VALU_DEP_1) | instskip(SKIP_1) | instid1(VALU_DEP_1)
	v_add_f32_e32 v89, v89, v90
	v_fma_f32 v86, 0x3f62ad3f, v101, -v86
	v_add_f32_e32 v6, v86, v6
	v_fmamk_f32 v86, v10, 0x3f52af12, v95
	v_fmac_f32_e32 v95, 0xbf52af12, v10
	v_fmamk_f32 v90, v101, 0x3f116cb1, v94
	v_fma_f32 v94, 0x3f116cb1, v101, -v94
	v_mul_f32_e32 v15, 0xbf3f9e67, v15
	s_delay_alu instid0(VALU_DEP_4) | instskip(NEXT) | instid1(VALU_DEP_4)
	v_dual_fmac_f32 v100, 0x3eedf032, v10 :: v_dual_add_f32 v7, v95, v7
	v_add_f32_e32 v90, v90, v96
	s_delay_alu instid0(VALU_DEP_4) | instskip(SKIP_3) | instid1(VALU_DEP_3)
	v_add_f32_e32 v92, v94, v92
	v_dual_add_f32 v86, v86, v87 :: v_dual_fmamk_f32 v87, v101, 0xbf3f9e67, v97
	v_dual_sub_f32 v94, v39, v19 :: v_dual_fmamk_f32 v95, v10, 0x3f29c268, v15
	v_dual_add_f32 v96, v18, v38 :: v_dual_add_f32 v19, v19, v39
	v_add_f32_e32 v87, v87, v98
	s_delay_alu instid0(VALU_DEP_3) | instskip(SKIP_4) | instid1(VALU_DEP_4)
	v_dual_mul_f32 v98, 0xbf6f5d39, v94 :: v_dual_add_f32 v83, v95, v83
	v_fma_f32 v39, 0xbf3f9e67, v101, -v97
	v_fmac_f32_e32 v15, 0xbf29c268, v10
	v_sub_f32_e32 v10, v38, v18
	v_mul_f32_e32 v38, 0xbeb58ec6, v19
	v_dual_fmamk_f32 v18, v96, 0xbeb58ec6, v98 :: v_dual_add_f32 v39, v39, v43
	s_delay_alu instid0(VALU_DEP_4) | instskip(SKIP_1) | instid1(VALU_DEP_4)
	v_add_f32_e32 v11, v15, v11
	v_mul_f32_e32 v95, 0xbf3f9e67, v19
	v_fmamk_f32 v15, v10, 0x3f6f5d39, v38
	s_delay_alu instid0(VALU_DEP_4)
	v_add_f32_e32 v14, v18, v14
	v_fma_f32 v43, 0xbeb58ec6, v96, -v98
	v_add_f32_e32 v91, v100, v91
	v_mul_f32_e32 v97, 0x3df6dbef, v19
	v_add_f32_e32 v15, v15, v46
	v_fmac_f32_e32 v38, 0xbf6f5d39, v10
	v_add_f32_e32 v43, v43, v78
	v_mul_f32_e32 v78, 0x3eedf032, v94
	s_delay_alu instid0(VALU_DEP_3) | instskip(SKIP_3) | instid1(VALU_DEP_1)
	v_add_f32_e32 v38, v38, v42
	v_fmamk_f32 v42, v10, 0xbf29c268, v95
	v_fmac_f32_e32 v95, 0x3f29c268, v10
	v_mul_f32_e32 v18, 0x3f29c268, v94
	v_fmamk_f32 v46, v96, 0xbf3f9e67, v18
	v_fma_f32 v18, 0xbf3f9e67, v96, -v18
	s_delay_alu instid0(VALU_DEP_1) | instskip(SKIP_1) | instid1(VALU_DEP_4)
	v_dual_add_f32 v18, v18, v47 :: v_dual_add_f32 v47, v95, v84
	v_mul_f32_e32 v84, 0xbf7e222b, v94
	v_dual_add_f32 v46, v46, v79 :: v_dual_fmamk_f32 v79, v96, 0x3f62ad3f, v78
	s_delay_alu instid0(VALU_DEP_1) | instskip(SKIP_1) | instid1(VALU_DEP_1)
	v_dual_add_f32 v79, v79, v82 :: v_dual_add_f32 v42, v42, v80
	v_mul_f32_e32 v80, 0x3f62ad3f, v19
	v_fmamk_f32 v82, v10, 0xbeedf032, v80
	v_fmac_f32_e32 v80, 0x3eedf032, v10
	s_delay_alu instid0(VALU_DEP_2) | instskip(NEXT) | instid1(VALU_DEP_2)
	v_add_f32_e32 v82, v82, v93
	v_dual_add_f32 v80, v80, v85 :: v_dual_fmamk_f32 v85, v10, 0x3f7e222b, v97
	v_fmac_f32_e32 v97, 0xbf7e222b, v10
	v_mul_f32_e32 v93, 0xbf788fa5, v19
	v_mul_f32_e32 v19, 0x3f116cb1, v19
	s_delay_alu instid0(VALU_DEP_3) | instskip(SKIP_2) | instid1(VALU_DEP_1)
	v_add_f32_e32 v91, v97, v91
	v_fmamk_f32 v95, v96, 0x3df6dbef, v84
	v_fma_f32 v84, 0x3df6dbef, v96, -v84
	v_dual_add_f32 v6, v84, v6 :: v_dual_add_f32 v85, v85, v89
	v_fma_f32 v78, 0x3f62ad3f, v96, -v78
	v_fmamk_f32 v84, v10, 0xbe750f2a, v93
	s_delay_alu instid0(VALU_DEP_2) | instskip(SKIP_2) | instid1(VALU_DEP_4)
	v_dual_add_f32 v78, v78, v81 :: v_dual_add_f32 v81, v95, v88
	v_mul_f32_e32 v88, 0x3e750f2a, v94
	v_mul_f32_e32 v94, 0x3f52af12, v94
	v_add_f32_e32 v84, v84, v86
	s_delay_alu instid0(VALU_DEP_2) | instskip(NEXT) | instid1(VALU_DEP_1)
	v_fmamk_f32 v86, v96, 0x3f116cb1, v94
	v_add_f32_e32 v86, v86, v87
	v_fmamk_f32 v87, v10, 0xbf52af12, v19
	v_fmac_f32_e32 v19, 0x3f52af12, v10
	s_delay_alu instid0(VALU_DEP_2) | instskip(SKIP_4) | instid1(VALU_DEP_3)
	v_add_f32_e32 v83, v87, v83
	v_fmamk_f32 v89, v96, 0xbf788fa5, v88
	v_fma_f32 v88, 0xbf788fa5, v96, -v88
	v_fmac_f32_e32 v93, 0x3e750f2a, v10
	v_add_f32_e32 v11, v19, v11
	v_dual_add_f32 v89, v89, v90 :: v_dual_add_f32 v88, v88, v92
	v_sub_f32_e32 v90, v35, v23
	s_delay_alu instid0(VALU_DEP_4) | instskip(SKIP_2) | instid1(VALU_DEP_4)
	v_add_f32_e32 v7, v93, v7
	v_dual_add_f32 v23, v23, v35 :: v_dual_add_f32 v92, v22, v34
	v_fma_f32 v35, 0x3f116cb1, v96, -v94
	v_mul_f32_e32 v93, 0xbf29c268, v90
	s_delay_alu instid0(VALU_DEP_3) | instskip(SKIP_1) | instid1(VALU_DEP_4)
	v_dual_mul_f32 v87, 0x3df6dbef, v23 :: v_dual_sub_f32 v10, v34, v22
	v_mul_f32_e32 v34, 0xbf3f9e67, v23
	v_add_f32_e32 v35, v35, v39
	s_delay_alu instid0(VALU_DEP_4) | instskip(SKIP_3) | instid1(VALU_DEP_3)
	v_fma_f32 v39, 0xbf3f9e67, v92, -v93
	v_fmamk_f32 v22, v92, 0xbf3f9e67, v93
	v_mul_f32_e32 v93, 0xbf788fa5, v23
	v_fmamk_f32 v19, v10, 0x3f29c268, v34
	v_dual_add_f32 v39, v39, v43 :: v_dual_add_f32 v14, v22, v14
	s_delay_alu instid0(VALU_DEP_2) | instskip(SKIP_1) | instid1(VALU_DEP_2)
	v_dual_mul_f32 v22, 0x3f7e222b, v90 :: v_dual_add_f32 v15, v19, v15
	v_mul_f32_e32 v43, 0xbf52af12, v90
	v_fmamk_f32 v19, v92, 0x3df6dbef, v22
	v_fma_f32 v22, 0x3df6dbef, v92, -v22
	s_delay_alu instid0(VALU_DEP_2) | instskip(SKIP_2) | instid1(VALU_DEP_4)
	v_add_f32_e32 v19, v19, v46
	v_fmac_f32_e32 v34, 0xbf29c268, v10
	v_mul_f32_e32 v46, 0x3f116cb1, v23
	v_add_f32_e32 v18, v22, v18
	s_delay_alu instid0(VALU_DEP_3) | instskip(SKIP_1) | instid1(VALU_DEP_1)
	v_add_f32_e32 v34, v34, v38
	v_fmamk_f32 v38, v10, 0xbf7e222b, v87
	v_add_f32_e32 v38, v38, v42
	v_fmamk_f32 v42, v92, 0x3f116cb1, v43
	s_delay_alu instid0(VALU_DEP_1) | instskip(SKIP_4) | instid1(VALU_DEP_3)
	v_add_f32_e32 v42, v42, v79
	v_fmamk_f32 v79, v10, 0x3f52af12, v46
	v_fmac_f32_e32 v46, 0xbf52af12, v10
	v_fmac_f32_e32 v87, 0x3f7e222b, v10
	v_fma_f32 v43, 0x3f116cb1, v92, -v43
	v_add_f32_e32 v46, v46, v80
	s_delay_alu instid0(VALU_DEP_3) | instskip(SKIP_2) | instid1(VALU_DEP_2)
	v_add_f32_e32 v22, v87, v47
	v_fmamk_f32 v80, v10, 0xbe750f2a, v93
	v_mul_f32_e32 v47, 0x3e750f2a, v90
	v_dual_add_f32 v43, v43, v78 :: v_dual_add_f32 v80, v80, v85
	s_delay_alu instid0(VALU_DEP_2) | instskip(SKIP_1) | instid1(VALU_DEP_2)
	v_fmamk_f32 v87, v92, 0xbf788fa5, v47
	v_fma_f32 v47, 0xbf788fa5, v92, -v47
	v_dual_add_f32 v78, v87, v81 :: v_dual_mul_f32 v81, 0x3eedf032, v90
	s_delay_alu instid0(VALU_DEP_2) | instskip(SKIP_1) | instid1(VALU_DEP_3)
	v_add_f32_e32 v47, v47, v6
	v_mul_f32_e32 v90, 0xbf6f5d39, v90
	v_fmamk_f32 v85, v92, 0x3f62ad3f, v81
	v_fma_f32 v81, 0x3f62ad3f, v92, -v81
	s_delay_alu instid0(VALU_DEP_2) | instskip(NEXT) | instid1(VALU_DEP_2)
	v_add_f32_e32 v85, v85, v89
	v_dual_add_f32 v81, v81, v88 :: v_dual_sub_f32 v88, v31, v27
	v_dual_add_f32 v79, v79, v82 :: v_dual_mul_f32 v82, 0x3f62ad3f, v23
	v_add_f32_e32 v89, v26, v30
	v_mul_f32_e32 v23, 0xbeb58ec6, v23
	s_delay_alu instid0(VALU_DEP_3) | instskip(SKIP_1) | instid1(VALU_DEP_1)
	v_fmamk_f32 v6, v10, 0xbeedf032, v82
	v_fmac_f32_e32 v82, 0x3eedf032, v10
	v_dual_fmac_f32 v93, 0x3e750f2a, v10 :: v_dual_add_f32 v82, v82, v7
	s_delay_alu instid0(VALU_DEP_1) | instskip(NEXT) | instid1(VALU_DEP_4)
	v_add_f32_e32 v87, v93, v91
	v_dual_add_f32 v91, v27, v31 :: v_dual_add_f32 v84, v6, v84
	v_fmamk_f32 v6, v92, 0xbeb58ec6, v90
	v_mul_f32_e32 v7, 0xbe750f2a, v88
	s_delay_alu instid0(VALU_DEP_2) | instskip(SKIP_1) | instid1(VALU_DEP_1)
	v_dual_mul_f32 v31, 0x3f52af12, v88 :: v_dual_add_f32 v86, v6, v86
	v_fmamk_f32 v6, v10, 0x3f6f5d39, v23
	v_add_f32_e32 v83, v6, v83
	v_fma_f32 v27, 0xbeb58ec6, v92, -v90
	v_fmac_f32_e32 v23, 0xbf6f5d39, v10
	v_sub_f32_e32 v90, v30, v26
	v_fmamk_f32 v10, v89, 0xbf788fa5, v7
	v_mul_f32_e32 v26, 0xbf788fa5, v91
	v_add_f32_e32 v92, v27, v35
	v_add_f32_e32 v93, v23, v11
	s_delay_alu instid0(VALU_DEP_4) | instskip(SKIP_3) | instid1(VALU_DEP_4)
	v_dual_mul_f32 v23, 0x3eedf032, v88 :: v_dual_add_f32 v6, v10, v14
	v_mul_f32_e32 v27, 0x3f62ad3f, v91
	v_fmamk_f32 v10, v90, 0x3e750f2a, v26
	v_fma_f32 v11, 0xbf788fa5, v89, -v7
	v_fmamk_f32 v14, v89, 0x3f62ad3f, v23
	v_mul_f32_e32 v30, 0xbf3f9e67, v91
	v_mul_f32_e32 v35, 0x3f116cb1, v91
	v_add_f32_e32 v7, v10, v15
	v_dual_add_f32 v10, v11, v39 :: v_dual_fmamk_f32 v15, v90, 0xbeedf032, v27
	v_dual_add_f32 v14, v14, v19 :: v_dual_fmac_f32 v27, 0x3eedf032, v90
	v_fma_f32 v19, 0x3f62ad3f, v89, -v23
	v_fma_f32 v39, 0x3f116cb1, v89, -v31
	s_delay_alu instid0(VALU_DEP_4) | instskip(NEXT) | instid1(VALU_DEP_3)
	v_add_f32_e32 v15, v15, v38
	v_add_f32_e32 v18, v19, v18
	;; [unrolled: 1-line block ×3, first 2 shown]
	v_fmac_f32_e32 v26, 0xbe750f2a, v90
	s_delay_alu instid0(VALU_DEP_1) | instskip(SKIP_1) | instid1(VALU_DEP_2)
	v_dual_add_f32 v11, v26, v34 :: v_dual_mul_f32 v26, 0xbf29c268, v88
	v_fmamk_f32 v34, v89, 0x3f116cb1, v31
	v_fmamk_f32 v23, v89, 0xbf3f9e67, v26
	s_delay_alu instid0(VALU_DEP_1) | instskip(NEXT) | instid1(VALU_DEP_1)
	v_dual_add_f32 v22, v23, v42 :: v_dual_fmamk_f32 v23, v90, 0x3f29c268, v30
	v_dual_fmac_f32 v30, 0xbf29c268, v90 :: v_dual_add_f32 v23, v23, v79
	s_delay_alu instid0(VALU_DEP_1) | instskip(SKIP_3) | instid1(VALU_DEP_2)
	v_add_f32_e32 v27, v30, v46
	v_add_f32_e32 v30, v34, v78
	v_fmamk_f32 v34, v90, 0xbf52af12, v35
	v_fmac_f32_e32 v35, 0x3f52af12, v90
	v_dual_add_f32 v31, v34, v80 :: v_dual_add_f32 v34, v39, v47
	s_delay_alu instid0(VALU_DEP_2) | instskip(SKIP_1) | instid1(VALU_DEP_1)
	v_add_f32_e32 v35, v35, v87
	v_fma_f32 v26, 0xbf3f9e67, v89, -v26
	v_dual_mul_f32 v47, 0x3f7e222b, v88 :: v_dual_add_f32 v26, v26, v43
	v_mul_f32_e32 v43, 0xbeb58ec6, v91
	v_mul_f32_e32 v38, 0xbf6f5d39, v88
	s_delay_alu instid0(VALU_DEP_3) | instskip(NEXT) | instid1(VALU_DEP_3)
	v_fma_f32 v80, 0x3df6dbef, v89, -v47
	v_fmamk_f32 v39, v90, 0x3f6f5d39, v43
	v_fmac_f32_e32 v43, 0xbf6f5d39, v90
	s_delay_alu instid0(VALU_DEP_4) | instskip(SKIP_1) | instid1(VALU_DEP_1)
	v_fma_f32 v46, 0xbeb58ec6, v89, -v38
	v_mul_f32_e32 v79, 0x3df6dbef, v91
	v_dual_add_f32 v43, v43, v82 :: v_dual_fmamk_f32 v78, v90, 0xbf7e222b, v79
	v_fmamk_f32 v42, v89, 0xbeb58ec6, v38
	s_delay_alu instid0(VALU_DEP_1) | instskip(SKIP_1) | instid1(VALU_DEP_4)
	v_add_f32_e32 v38, v42, v85
	v_dual_add_f32 v42, v46, v81 :: v_dual_fmac_f32 v79, 0x3f7e222b, v90
	v_dual_fmamk_f32 v46, v89, 0x3df6dbef, v47 :: v_dual_add_f32 v47, v78, v83
	v_add_f32_e32 v78, v80, v92
	v_add_f32_e32 v39, v39, v84
	s_delay_alu instid0(VALU_DEP_3)
	v_dual_add_f32 v79, v79, v93 :: v_dual_add_f32 v46, v46, v86
	ds_store_2addr_b64 v77, v[2:3], v[6:7] offset1:1
	ds_store_2addr_b64 v77, v[14:15], v[22:23] offset0:2 offset1:3
	ds_store_2addr_b64 v77, v[30:31], v[38:39] offset0:4 offset1:5
	;; [unrolled: 1-line block ×5, first 2 shown]
	ds_store_b64 v77, v[10:11] offset:96
	v_cmpx_gt_u32_e32 8, v72
	s_cbranch_execz .LBB0_15
; %bb.14:
	v_dual_add_f32 v88, v51, v45 :: v_dual_sub_f32 v11, v40, v4
	v_dual_sub_f32 v18, v44, v50 :: v_dual_add_f32 v77, v9, v37
	v_dual_add_f32 v80, v5, v41 :: v_dual_sub_f32 v15, v28, v16
	s_delay_alu instid0(VALU_DEP_3) | instskip(SKIP_1) | instid1(VALU_DEP_3)
	v_dual_mul_f32 v38, 0xbf788fa5, v88 :: v_dual_add_f32 v47, v13, v33
	v_sub_f32_e32 v10, v32, v12
	v_dual_mul_f32 v39, 0x3f62ad3f, v80 :: v_dual_add_f32 v78, v17, v29
	s_delay_alu instid0(VALU_DEP_3) | instskip(NEXT) | instid1(VALU_DEP_2)
	v_dual_fmamk_f32 v2, v18, 0x3e750f2a, v38 :: v_dual_sub_f32 v99, v41, v5
	v_dual_sub_f32 v14, v36, v8 :: v_dual_fmamk_f32 v3, v11, 0xbeedf032, v39
	v_dual_mul_f32 v34, 0xbf3f9e67, v77 :: v_dual_add_f32 v19, v50, v44
	s_delay_alu instid0(VALU_DEP_3) | instskip(SKIP_1) | instid1(VALU_DEP_3)
	v_dual_mul_f32 v35, 0x3f116cb1, v47 :: v_dual_add_f32 v2, v1, v2
	v_dual_add_f32 v22, v4, v40 :: v_dual_sub_f32 v103, v33, v13
	v_dual_fmamk_f32 v6, v14, 0x3f29c268, v34 :: v_dual_sub_f32 v101, v37, v9
	s_delay_alu instid0(VALU_DEP_3) | instskip(NEXT) | instid1(VALU_DEP_4)
	v_dual_add_f32 v2, v3, v2 :: v_dual_mul_f32 v83, 0x3eedf032, v99
	v_fmamk_f32 v3, v10, 0xbf52af12, v35
	v_dual_mul_f32 v42, 0xbeb58ec6, v78 :: v_dual_sub_f32 v23, v24, v20
	v_sub_f32_e32 v96, v45, v51
	s_delay_alu instid0(VALU_DEP_4) | instskip(SKIP_2) | instid1(VALU_DEP_3)
	v_dual_add_f32 v2, v6, v2 :: v_dual_add_f32 v27, v12, v32
	v_dual_fmamk_f32 v7, v22, 0x3f62ad3f, v83 :: v_dual_add_f32 v98, v21, v25
	v_add_f32_e32 v26, v8, v36
	v_add_f32_e32 v2, v3, v2
	v_fmamk_f32 v3, v15, 0x3f6f5d39, v42
	v_dual_mul_f32 v82, 0xbe750f2a, v96 :: v_dual_sub_f32 v105, v25, v21
	v_dual_mul_f32 v43, 0x3df6dbef, v98 :: v_dual_add_f32 v30, v16, v28
	s_delay_alu instid0(VALU_DEP_3) | instskip(NEXT) | instid1(VALU_DEP_3)
	v_dual_add_f32 v2, v3, v2 :: v_dual_mul_f32 v93, 0xbf3f9e67, v88
	v_fmamk_f32 v6, v19, 0xbf788fa5, v82
	v_mul_f32_e32 v79, 0x3f52af12, v103
	v_mul_f32_e32 v81, 0x3f7e222b, v105
	v_dual_sub_f32 v104, v29, v17 :: v_dual_mul_f32 v89, 0x3f62ad3f, v78
	s_delay_alu instid0(VALU_DEP_4) | instskip(SKIP_2) | instid1(VALU_DEP_4)
	v_add_f32_e32 v6, v0, v6
	v_mul_f32_e32 v124, 0xbf29c268, v105
	v_dual_mul_f32 v130, 0x3f29c268, v103 :: v_dual_add_f32 v31, v20, v24
	v_fmamk_f32 v102, v15, 0xbeedf032, v89
	s_delay_alu instid0(VALU_DEP_4) | instskip(SKIP_3) | instid1(VALU_DEP_4)
	v_dual_add_f32 v3, v7, v6 :: v_dual_mul_f32 v46, 0xbf29c268, v101
	v_fmamk_f32 v7, v23, 0xbf7e222b, v43
	v_mul_f32_e32 v84, 0xbf6f5d39, v104
	v_dual_mul_f32 v100, 0x3f116cb1, v77 :: v_dual_mul_f32 v115, 0x3f116cb1, v98
	v_fmamk_f32 v6, v26, 0xbf3f9e67, v46
	v_mul_f32_e32 v126, 0xbf52af12, v96
	v_mul_f32_e32 v128, 0xbf3f9e67, v47
	v_fmac_f32_e32 v38, 0xbe750f2a, v18
	s_delay_alu instid0(VALU_DEP_4) | instskip(SKIP_4) | instid1(VALU_DEP_4)
	v_dual_fmamk_f32 v116, v23, 0xbf52af12, v115 :: v_dual_add_f32 v3, v6, v3
	v_fmamk_f32 v6, v27, 0x3f116cb1, v79
	v_mul_f32_e32 v91, 0xbf29c268, v96
	v_mul_f32_e32 v110, 0x3f29c268, v99
	v_dual_fmac_f32 v42, 0xbf6f5d39, v15 :: v_dual_add_f32 v45, v1, v45
	v_dual_add_f32 v6, v6, v3 :: v_dual_add_f32 v3, v7, v2
	v_fmamk_f32 v7, v31, 0x3df6dbef, v81
	v_fmamk_f32 v85, v30, 0xbeb58ec6, v84
	;; [unrolled: 1-line block ×3, first 2 shown]
	v_dual_mul_f32 v92, 0x3f7e222b, v99 :: v_dual_add_f32 v41, v45, v41
	v_fmac_f32_e32 v93, 0xbf29c268, v18
	s_delay_alu instid0(VALU_DEP_4) | instskip(NEXT) | instid1(VALU_DEP_4)
	v_add_f32_e32 v6, v85, v6
	v_dual_add_f32 v85, v1, v2 :: v_dual_mul_f32 v94, 0x3df6dbef, v80
	s_delay_alu instid0(VALU_DEP_4) | instskip(NEXT) | instid1(VALU_DEP_3)
	v_dual_add_f32 v37, v41, v37 :: v_dual_mul_f32 v132, 0x3f7e222b, v104
	v_add_f32_e32 v2, v7, v6
	v_fmamk_f32 v6, v19, 0xbf3f9e67, v91
	v_mul_f32_e32 v95, 0xbf788fa5, v47
	v_mul_f32_e32 v97, 0xbeb58ec6, v88
	v_add_f32_e32 v33, v37, v33
	s_delay_alu instid0(VALU_DEP_4) | instskip(NEXT) | instid1(VALU_DEP_4)
	v_dual_mul_f32 v45, 0x3f62ad3f, v77 :: v_dual_add_f32 v6, v0, v6
	v_fmamk_f32 v90, v10, 0xbe750f2a, v95
	v_fmamk_f32 v86, v11, 0xbf7e222b, v94
	s_delay_alu instid0(VALU_DEP_4) | instskip(SKIP_2) | instid1(VALU_DEP_4)
	v_dual_fmamk_f32 v108, v18, 0x3f6f5d39, v97 :: v_dual_add_f32 v33, v33, v29
	v_mul_f32_e32 v111, 0x3eedf032, v101
	v_mul_f32_e32 v113, 0xbf788fa5, v78
	v_add_f32_e32 v7, v86, v85
	s_delay_alu instid0(VALU_DEP_4) | instskip(SKIP_2) | instid1(VALU_DEP_3)
	v_dual_fmamk_f32 v85, v14, 0x3f52af12, v100 :: v_dual_add_f32 v108, v1, v108
	v_dual_add_f32 v25, v33, v25 :: v_dual_fmac_f32 v94, 0x3f7e222b, v11
	v_mul_f32_e32 v119, 0xbeb58ec6, v77
	v_dual_add_f32 v7, v85, v7 :: v_dual_mul_f32 v112, 0xbf6f5d39, v105
	v_mul_f32_e32 v37, 0xbf788fa5, v80
	s_delay_alu instid0(VALU_DEP_4) | instskip(NEXT) | instid1(VALU_DEP_4)
	v_add_f32_e32 v21, v25, v21
	v_fmamk_f32 v33, v14, 0xbf6f5d39, v119
	s_delay_alu instid0(VALU_DEP_4) | instskip(NEXT) | instid1(VALU_DEP_4)
	v_dual_add_f32 v7, v90, v7 :: v_dual_mul_f32 v90, 0xbeb58ec6, v98
	v_fmamk_f32 v117, v11, 0x3e750f2a, v37
	v_mul_f32_e32 v129, 0xbe750f2a, v101
	v_mul_f32_e32 v123, 0x3eedf032, v103
	s_delay_alu instid0(VALU_DEP_4)
	v_add_f32_e32 v7, v102, v7
	v_fmamk_f32 v107, v23, 0x3f6f5d39, v90
	v_fmamk_f32 v86, v22, 0x3df6dbef, v92
	v_mul_f32_e32 v102, 0xbf6f5d39, v96
	v_add_f32_e32 v44, v0, v44
	v_fmac_f32_e32 v90, 0xbf6f5d39, v23
	v_add_f32_e32 v7, v107, v7
	v_mul_f32_e32 v107, 0xbf3f9e67, v80
	s_delay_alu instid0(VALU_DEP_4) | instskip(SKIP_1) | instid1(VALU_DEP_3)
	v_dual_fmamk_f32 v109, v19, 0xbeb58ec6, v102 :: v_dual_add_f32 v40, v44, v40
	v_dual_mul_f32 v87, 0xbf52af12, v101 :: v_dual_add_f32 v6, v86, v6
	v_fmamk_f32 v44, v11, 0xbf29c268, v107
	v_dual_fmac_f32 v100, 0xbf52af12, v14 :: v_dual_add_f32 v17, v21, v17
	v_mul_f32_e32 v121, 0x3f6f5d39, v101
	s_delay_alu instid0(VALU_DEP_3) | instskip(NEXT) | instid1(VALU_DEP_3)
	v_dual_mul_f32 v125, 0xbf788fa5, v77 :: v_dual_add_f32 v44, v44, v108
	v_dual_fmamk_f32 v108, v14, 0xbeedf032, v45 :: v_dual_add_f32 v17, v17, v13
	v_mul_f32_e32 v127, 0xbf6f5d39, v99
	v_mul_f32_e32 v131, 0x3f62ad3f, v98
	s_delay_alu instid0(VALU_DEP_3) | instskip(SKIP_4) | instid1(VALU_DEP_4)
	v_dual_fmac_f32 v39, 0x3eedf032, v11 :: v_dual_add_f32 v44, v108, v44
	v_fmamk_f32 v86, v26, 0x3f116cb1, v87
	v_mul_f32_e32 v85, 0x3e750f2a, v103
	v_dual_fmamk_f32 v108, v26, 0x3f62ad3f, v111 :: v_dual_add_f32 v9, v17, v9
	v_fmamk_f32 v17, v22, 0xbeb58ec6, v127
	v_add_f32_e32 v6, v86, v6
	s_delay_alu instid0(VALU_DEP_4) | instskip(SKIP_2) | instid1(VALU_DEP_3)
	v_fmamk_f32 v106, v27, 0xbf788fa5, v85
	v_dual_mul_f32 v86, 0x3eedf032, v104 :: v_dual_mul_f32 v133, 0x3eedf032, v105
	v_mul_f32_e32 v101, 0xbf7e222b, v101
	v_dual_mul_f32 v77, 0x3df6dbef, v77 :: v_dual_add_f32 v6, v106, v6
	s_delay_alu instid0(VALU_DEP_3)
	v_fmamk_f32 v106, v30, 0x3f62ad3f, v86
	v_fmac_f32_e32 v35, 0x3f52af12, v10
	v_fmac_f32_e32 v95, 0x3e750f2a, v10
	;; [unrolled: 1-line block ×4, first 2 shown]
	v_add_f32_e32 v6, v106, v6
	v_dual_add_f32 v106, v0, v109 :: v_dual_fmamk_f32 v109, v22, 0xbf3f9e67, v110
	v_add_f32_e32 v36, v40, v36
	v_mul_f32_e32 v40, 0xbf7e222b, v103
	v_mul_f32_e32 v103, 0xbf6f5d39, v103
	s_delay_alu instid0(VALU_DEP_4) | instskip(NEXT) | instid1(VALU_DEP_4)
	v_dual_fmac_f32 v107, 0x3f29c268, v11 :: v_dual_add_f32 v106, v109, v106
	v_dual_mul_f32 v109, 0x3df6dbef, v47 :: v_dual_add_f32 v32, v36, v32
	v_fmac_f32_e32 v89, 0x3eedf032, v15
	v_fmac_f32_e32 v45, 0x3eedf032, v14
	v_fmac_f32_e32 v37, 0xbe750f2a, v11
	s_delay_alu instid0(VALU_DEP_4) | instskip(SKIP_2) | instid1(VALU_DEP_3)
	v_dual_fmamk_f32 v41, v10, 0x3f7e222b, v109 :: v_dual_add_f32 v28, v32, v28
	v_mul_f32_e32 v32, 0xbf7e222b, v96
	v_add_f32_e32 v106, v108, v106
	v_dual_fmamk_f32 v108, v27, 0x3df6dbef, v40 :: v_dual_add_f32 v41, v41, v44
	v_fmamk_f32 v44, v15, 0xbe750f2a, v113
	v_add_f32_e32 v24, v28, v24
	v_mul_f32_e32 v96, 0xbeedf032, v96
	v_fmac_f32_e32 v113, 0x3e750f2a, v15
	s_delay_alu instid0(VALU_DEP_4) | instskip(NEXT) | instid1(VALU_DEP_4)
	v_dual_fmac_f32 v34, 0xbf29c268, v14 :: v_dual_add_f32 v41, v44, v41
	v_dual_add_f32 v20, v24, v20 :: v_dual_fmac_f32 v119, 0x3f6f5d39, v14
	v_fmac_f32_e32 v109, 0xbf7e222b, v10
	v_fmac_f32_e32 v115, 0x3f52af12, v23
	s_delay_alu instid0(VALU_DEP_4) | instskip(NEXT) | instid1(VALU_DEP_4)
	v_dual_add_f32 v29, v116, v41 :: v_dual_mul_f32 v116, 0xbe750f2a, v99
	v_dual_add_f32 v16, v20, v16 :: v_dual_fmamk_f32 v41, v19, 0x3df6dbef, v32
	v_add_f32_e32 v106, v108, v106
	v_mul_f32_e32 v108, 0x3df6dbef, v88
	s_delay_alu instid0(VALU_DEP_3) | instskip(NEXT) | instid1(VALU_DEP_4)
	v_dual_mul_f32 v99, 0xbf52af12, v99 :: v_dual_add_f32 v12, v16, v12
	v_dual_add_f32 v41, v0, v41 :: v_dual_mul_f32 v122, 0x3f116cb1, v78
	s_delay_alu instid0(VALU_DEP_3) | instskip(SKIP_1) | instid1(VALU_DEP_4)
	v_fmamk_f32 v36, v18, 0x3f7e222b, v108
	v_fmamk_f32 v16, v19, 0x3f116cb1, v126
	v_add_f32_e32 v8, v12, v8
	v_fmamk_f32 v120, v22, 0xbf788fa5, v116
	v_fmamk_f32 v114, v31, 0xbeb58ec6, v112
	v_add_f32_e32 v36, v1, v36
	v_add_f32_e32 v16, v0, v16
	s_delay_alu instid0(VALU_DEP_3) | instskip(SKIP_1) | instid1(VALU_DEP_4)
	v_dual_add_f32 v41, v120, v41 :: v_dual_add_f32 v6, v114, v6
	v_mul_f32_e32 v114, 0x3e750f2a, v104
	v_dual_add_f32 v36, v117, v36 :: v_dual_mul_f32 v117, 0x3f62ad3f, v47
	v_dual_fmamk_f32 v120, v26, 0xbeb58ec6, v121 :: v_dual_mul_f32 v47, 0xbeb58ec6, v47
	s_delay_alu instid0(VALU_DEP_2) | instskip(NEXT) | instid1(VALU_DEP_3)
	v_dual_fmamk_f32 v44, v30, 0xbf788fa5, v114 :: v_dual_add_f32 v33, v33, v36
	v_fmamk_f32 v36, v10, 0xbeedf032, v117
	v_dual_add_f32 v16, v17, v16 :: v_dual_fmamk_f32 v17, v26, 0xbf788fa5, v129
	s_delay_alu instid0(VALU_DEP_3) | instskip(SKIP_1) | instid1(VALU_DEP_4)
	v_add_f32_e32 v44, v44, v106
	v_fmac_f32_e32 v117, 0x3eedf032, v10
	v_add_f32_e32 v33, v36, v33
	v_dual_add_f32 v36, v120, v41 :: v_dual_fmamk_f32 v41, v15, 0x3f52af12, v122
	v_dual_add_f32 v16, v17, v16 :: v_dual_fmamk_f32 v17, v27, 0xbf3f9e67, v130
	s_delay_alu instid0(VALU_DEP_2) | instskip(NEXT) | instid1(VALU_DEP_2)
	v_dual_add_f32 v24, v41, v33 :: v_dual_mul_f32 v41, 0xbf3f9e67, v98
	v_add_f32_e32 v16, v17, v16
	v_mul_f32_e32 v98, 0xbf788fa5, v98
	v_fmamk_f32 v17, v23, 0xbeedf032, v131
	v_fmac_f32_e32 v131, 0x3eedf032, v23
	v_fmamk_f32 v20, v23, 0x3f29c268, v41
	v_mul_f32_e32 v106, 0x3f52af12, v105
	v_mul_f32_e32 v105, 0xbe750f2a, v105
	v_fmac_f32_e32 v41, 0xbf29c268, v23
	s_delay_alu instid0(VALU_DEP_3) | instskip(SKIP_3) | instid1(VALU_DEP_4)
	v_dual_add_f32 v13, v20, v24 :: v_dual_fmamk_f32 v118, v31, 0x3f116cb1, v106
	v_add_f32_e32 v24, v9, v5
	v_mul_f32_e32 v120, 0x3f116cb1, v88
	v_dual_mul_f32 v88, 0x3f62ad3f, v88 :: v_dual_fmamk_f32 v9, v31, 0x3f62ad3f, v133
	v_add_f32_e32 v28, v118, v44
	v_fmamk_f32 v44, v27, 0x3f62ad3f, v123
	v_mul_f32_e32 v118, 0xbf52af12, v104
	v_mul_f32_e32 v104, 0xbf29c268, v104
	s_delay_alu instid0(VALU_DEP_3) | instskip(SKIP_1) | instid1(VALU_DEP_4)
	v_dual_add_f32 v25, v44, v36 :: v_dual_fmamk_f32 v36, v18, 0x3f52af12, v120
	v_mul_f32_e32 v44, 0xbeb58ec6, v80
	v_dual_fmamk_f32 v33, v30, 0x3f116cb1, v118 :: v_dual_mul_f32 v80, 0x3f116cb1, v80
	s_delay_alu instid0(VALU_DEP_2) | instskip(NEXT) | instid1(VALU_DEP_2)
	v_dual_add_f32 v21, v1, v36 :: v_dual_fmamk_f32 v36, v11, 0x3f6f5d39, v44
	v_add_f32_e32 v25, v33, v25
	v_fmamk_f32 v33, v31, 0xbf3f9e67, v124
	s_delay_alu instid0(VALU_DEP_3) | instskip(SKIP_1) | instid1(VALU_DEP_3)
	v_dual_fmac_f32 v108, 0xbf7e222b, v18 :: v_dual_add_f32 v21, v36, v21
	v_fmamk_f32 v36, v14, 0x3e750f2a, v125
	v_dual_add_f32 v12, v33, v25 :: v_dual_add_f32 v25, v8, v4
	v_fmamk_f32 v4, v18, 0x3eedf032, v88
	v_fma_f32 v33, 0xbeb58ec6, v30, -v84
	s_delay_alu instid0(VALU_DEP_4) | instskip(SKIP_3) | instid1(VALU_DEP_3)
	v_dual_add_f32 v20, v36, v21 :: v_dual_fmamk_f32 v21, v10, 0xbf29c268, v128
	v_mul_f32_e32 v36, 0x3df6dbef, v78
	v_fmac_f32_e32 v125, 0xbe750f2a, v14
	v_fma_f32 v32, 0x3df6dbef, v19, -v32
	v_dual_add_f32 v20, v21, v20 :: v_dual_fmamk_f32 v21, v15, 0xbf7e222b, v36
	v_fmac_f32_e32 v36, 0x3f7e222b, v15
	s_delay_alu instid0(VALU_DEP_2) | instskip(NEXT) | instid1(VALU_DEP_1)
	v_dual_add_f32 v20, v21, v20 :: v_dual_fmamk_f32 v21, v30, 0x3df6dbef, v132
	v_add_f32_e32 v5, v17, v20
	s_delay_alu instid0(VALU_DEP_2) | instskip(SKIP_2) | instid1(VALU_DEP_3)
	v_dual_add_f32 v8, v21, v16 :: v_dual_fmamk_f32 v17, v19, 0x3f62ad3f, v96
	v_add_f32_e32 v16, v1, v4
	v_dual_fmamk_f32 v20, v11, 0x3f52af12, v80 :: v_dual_add_f32 v21, v1, v38
	v_add_f32_e32 v4, v9, v8
	s_delay_alu instid0(VALU_DEP_4) | instskip(NEXT) | instid1(VALU_DEP_3)
	v_dual_add_f32 v8, v0, v17 :: v_dual_fmamk_f32 v9, v22, 0x3f116cb1, v99
	v_add_f32_e32 v16, v20, v16
	v_fmamk_f32 v20, v31, 0xbf788fa5, v105
	v_fmamk_f32 v17, v14, 0x3f7e222b, v77
	s_delay_alu instid0(VALU_DEP_4) | instskip(SKIP_3) | instid1(VALU_DEP_3)
	v_dual_fmac_f32 v77, 0xbf7e222b, v14 :: v_dual_add_f32 v8, v9, v8
	v_fmamk_f32 v9, v26, 0x3df6dbef, v101
	v_fma_f32 v38, 0xbf3f9e67, v22, -v110
	v_fmac_f32_e32 v122, 0xbf52af12, v15
	v_dual_add_f32 v8, v9, v8 :: v_dual_fmamk_f32 v9, v27, 0xbeb58ec6, v103
	v_fmac_f32_e32 v44, 0xbf6f5d39, v11
	s_delay_alu instid0(VALU_DEP_2) | instskip(SKIP_1) | instid1(VALU_DEP_2)
	v_dual_add_f32 v8, v9, v8 :: v_dual_fmamk_f32 v9, v30, 0xbf3f9e67, v104
	v_fmac_f32_e32 v128, 0x3f29c268, v10
	v_add_f32_e32 v8, v9, v8
	s_delay_alu instid0(VALU_DEP_1) | instskip(SKIP_2) | instid1(VALU_DEP_2)
	v_add_f32_e32 v8, v20, v8
	v_add_f32_e32 v20, v39, v21
	v_fma_f32 v39, 0x3df6dbef, v27, -v40
	v_add_f32_e32 v20, v34, v20
	s_delay_alu instid0(VALU_DEP_1) | instskip(SKIP_2) | instid1(VALU_DEP_3)
	v_add_f32_e32 v20, v35, v20
	v_fma_f32 v35, 0x3df6dbef, v22, -v92
	v_dual_add_f32 v16, v17, v16 :: v_dual_fmamk_f32 v17, v10, 0x3f6f5d39, v47
	v_dual_fmac_f32 v47, 0xbf6f5d39, v10 :: v_dual_add_f32 v20, v42, v20
	v_mul_f32_e32 v78, 0xbf3f9e67, v78
	v_fma_f32 v10, 0xbeb58ec6, v27, -v103
	s_delay_alu instid0(VALU_DEP_2) | instskip(NEXT) | instid1(VALU_DEP_1)
	v_dual_add_f32 v16, v17, v16 :: v_dual_fmamk_f32 v17, v15, 0x3f29c268, v78
	v_dual_add_f32 v16, v17, v16 :: v_dual_fmamk_f32 v17, v23, 0x3e750f2a, v98
	s_delay_alu instid0(VALU_DEP_1) | instskip(SKIP_3) | instid1(VALU_DEP_3)
	v_add_f32_e32 v9, v17, v16
	v_fma_f32 v16, 0xbf788fa5, v19, -v82
	v_add_f32_e32 v17, v24, v51
	v_fma_f32 v24, 0x3f62ad3f, v22, -v83
	v_dual_fmac_f32 v120, 0xbf52af12, v18 :: v_dual_add_f32 v21, v0, v16
	v_add_f32_e32 v16, v25, v50
	v_add_f32_e32 v25, v1, v93
	s_delay_alu instid0(VALU_DEP_3) | instskip(SKIP_1) | instid1(VALU_DEP_3)
	v_add_f32_e32 v21, v24, v21
	v_fma_f32 v24, 0xbf3f9e67, v26, -v46
	v_add_f32_e32 v25, v94, v25
	s_delay_alu instid0(VALU_DEP_2) | instskip(SKIP_1) | instid1(VALU_DEP_3)
	v_add_f32_e32 v21, v24, v21
	v_fma_f32 v24, 0x3f116cb1, v27, -v79
	v_dual_add_f32 v25, v100, v25 :: v_dual_fmac_f32 v88, 0xbeedf032, v18
	s_delay_alu instid0(VALU_DEP_2) | instskip(SKIP_1) | instid1(VALU_DEP_3)
	v_dual_add_f32 v24, v24, v21 :: v_dual_add_f32 v21, v43, v20
	v_fma_f32 v20, 0xbf3f9e67, v19, -v91
	v_dual_add_f32 v25, v95, v25 :: v_dual_fmac_f32 v80, 0xbf52af12, v11
	s_delay_alu instid0(VALU_DEP_3) | instskip(SKIP_1) | instid1(VALU_DEP_4)
	v_add_f32_e32 v24, v33, v24
	v_fma_f32 v33, 0x3df6dbef, v31, -v81
	v_add_f32_e32 v34, v0, v20
	v_fmac_f32_e32 v78, 0xbf29c268, v15
	v_fma_f32 v11, 0x3f116cb1, v22, -v99
	v_mul_i32_i24_e32 v15, 0x68, v76
	v_add_f32_e32 v20, v33, v24
	v_dual_add_f32 v24, v89, v25 :: v_dual_add_f32 v33, v35, v34
	v_fma_f32 v34, 0x3f116cb1, v26, -v87
	v_add_f32_e32 v35, v1, v97
	v_add3_u32 v15, 0, v15, v75
	s_delay_alu instid0(VALU_DEP_4)
	v_add_f32_e32 v25, v90, v24
	v_fma_f32 v24, 0xbeb58ec6, v19, -v102
	v_add_f32_e32 v33, v34, v33
	v_fma_f32 v34, 0xbf788fa5, v27, -v85
	v_add_f32_e32 v35, v107, v35
	v_fmac_f32_e32 v98, 0xbe750f2a, v23
	s_delay_alu instid0(VALU_DEP_3) | instskip(SKIP_1) | instid1(VALU_DEP_2)
	v_dual_add_f32 v24, v0, v24 :: v_dual_add_f32 v33, v34, v33
	v_fma_f32 v34, 0x3f62ad3f, v30, -v86
	v_dual_add_f32 v35, v45, v35 :: v_dual_add_f32 v24, v38, v24
	v_fma_f32 v38, 0x3f62ad3f, v26, -v111
	s_delay_alu instid0(VALU_DEP_3) | instskip(SKIP_1) | instid1(VALU_DEP_3)
	v_add_f32_e32 v33, v34, v33
	v_fma_f32 v34, 0xbeb58ec6, v31, -v112
	v_dual_add_f32 v35, v109, v35 :: v_dual_add_f32 v38, v38, v24
	s_delay_alu instid0(VALU_DEP_1) | instskip(NEXT) | instid1(VALU_DEP_2)
	v_dual_add_f32 v24, v34, v33 :: v_dual_add_f32 v33, v113, v35
	v_add_f32_e32 v34, v39, v38
	v_fma_f32 v35, 0xbf788fa5, v30, -v114
	v_add_f32_e32 v38, v1, v108
	v_fma_f32 v39, 0xbf788fa5, v22, -v116
	v_add_f32_e32 v33, v115, v33
	s_delay_alu instid0(VALU_DEP_4) | instskip(SKIP_2) | instid1(VALU_DEP_2)
	v_add_f32_e32 v34, v35, v34
	v_fma_f32 v35, 0x3f116cb1, v31, -v106
	v_dual_add_f32 v37, v37, v38 :: v_dual_add_f32 v38, v0, v32
	v_add_f32_e32 v32, v35, v34
	s_delay_alu instid0(VALU_DEP_2) | instskip(NEXT) | instid1(VALU_DEP_3)
	v_add_f32_e32 v34, v119, v37
	v_add_f32_e32 v35, v39, v38
	v_fma_f32 v37, 0xbeb58ec6, v26, -v121
	v_add_f32_e32 v38, v1, v120
	v_fma_f32 v39, 0x3f116cb1, v30, -v118
	v_add_f32_e32 v34, v117, v34
	v_add_f32_e32 v1, v1, v88
	;; [unrolled: 1-line block ×3, first 2 shown]
	v_fma_f32 v37, 0x3f62ad3f, v27, -v123
	v_add_f32_e32 v38, v44, v38
	s_delay_alu instid0(VALU_DEP_4) | instskip(NEXT) | instid1(VALU_DEP_3)
	v_dual_add_f32 v34, v122, v34 :: v_dual_add_f32 v1, v80, v1
	v_add_f32_e32 v37, v37, v35
	s_delay_alu instid0(VALU_DEP_3) | instskip(NEXT) | instid1(VALU_DEP_3)
	v_add_f32_e32 v38, v125, v38
	v_add_f32_e32 v35, v41, v34
	v_fma_f32 v34, 0x3f116cb1, v19, -v126
	v_fma_f32 v19, 0x3f62ad3f, v19, -v96
	v_add_f32_e32 v37, v39, v37
	v_fma_f32 v39, 0xbf3f9e67, v31, -v124
	v_add_f32_e32 v38, v128, v38
	v_add_f32_e32 v40, v0, v34
	v_fma_f32 v41, 0xbeb58ec6, v22, -v127
	v_add_f32_e32 v0, v0, v19
	v_add_f32_e32 v34, v39, v37
	;; [unrolled: 1-line block ×3, first 2 shown]
	v_fma_f32 v37, 0xbf788fa5, v26, -v129
	v_add_f32_e32 v36, v41, v40
	v_add_f32_e32 v0, v11, v0
	v_fma_f32 v11, 0x3df6dbef, v26, -v101
	v_fma_f32 v22, 0xbf3f9e67, v27, -v130
	v_add_f32_e32 v1, v77, v1
	v_add_f32_e32 v19, v37, v36
	s_delay_alu instid0(VALU_DEP_4) | instskip(NEXT) | instid1(VALU_DEP_2)
	v_add_f32_e32 v0, v11, v0
	v_dual_add_f32 v1, v47, v1 :: v_dual_add_f32 v14, v22, v19
	v_fma_f32 v19, 0x3df6dbef, v30, -v132
	s_delay_alu instid0(VALU_DEP_3) | instskip(SKIP_2) | instid1(VALU_DEP_4)
	v_add_f32_e32 v0, v10, v0
	v_fma_f32 v10, 0xbf3f9e67, v30, -v104
	v_fma_f32 v22, 0xbf788fa5, v31, -v105
	v_add_f32_e32 v11, v19, v14
	v_fma_f32 v14, 0x3f62ad3f, v31, -v133
	v_add_f32_e32 v19, v78, v1
	v_dual_add_f32 v1, v131, v18 :: v_dual_add_f32 v10, v10, v0
	s_delay_alu instid0(VALU_DEP_3) | instskip(NEXT) | instid1(VALU_DEP_3)
	v_add_f32_e32 v0, v14, v11
	v_add_f32_e32 v11, v98, v19
	s_delay_alu instid0(VALU_DEP_3)
	v_add_f32_e32 v10, v22, v10
	ds_store_2addr_b64 v15, v[16:17], v[8:9] offset1:1
	ds_store_2addr_b64 v15, v[4:5], v[12:13] offset0:2 offset1:3
	ds_store_2addr_b64 v15, v[28:29], v[6:7] offset0:4 offset1:5
	;; [unrolled: 1-line block ×5, first 2 shown]
	ds_store_b64 v15, v[10:11] offset:96
.LBB0_15:
	s_wait_alu 0xfffe
	s_or_b32 exec_lo, exec_lo, s1
	v_dual_mov_b32 v46, 0 :: v_dual_lshlrev_b32 v45, 1, v72
	global_wb scope:SCOPE_SE
	s_wait_dscnt 0x0
	s_barrier_signal -1
	s_barrier_wait -1
	global_inv scope:SCOPE_SE
	v_lshlrev_b64_e32 v[0:1], 3, v[45:46]
	v_mul_u32_u24_e32 v93, 6, v72
	v_mul_i32_i24_e32 v45, 6, v76
	s_delay_alu instid0(VALU_DEP_3) | instskip(SKIP_1) | instid1(VALU_DEP_4)
	v_add_co_u32 v0, s0, s4, v0
	s_wait_alu 0xf1ff
	v_add_co_ci_u32_e64 v1, s0, s5, v1, s0
	s_delay_alu instid0(VALU_DEP_3) | instskip(SKIP_2) | instid1(VALU_DEP_1)
	v_lshlrev_b64_e32 v[45:46], 3, v[45:46]
	global_load_b128 v[0:3], v[0:1], off
	v_and_b32_e32 v6, 0xff, v68
	v_mul_lo_u16 v6, 0x4f, v6
	s_delay_alu instid0(VALU_DEP_1) | instskip(NEXT) | instid1(VALU_DEP_1)
	v_lshrrev_b16 v6, 10, v6
	v_mul_lo_u16 v6, v6, 13
	s_delay_alu instid0(VALU_DEP_1) | instskip(NEXT) | instid1(VALU_DEP_1)
	v_sub_nc_u16 v6, v68, v6
	v_and_b32_e32 v98, 0xff, v6
	s_delay_alu instid0(VALU_DEP_1)
	v_lshlrev_b32_e32 v13, 4, v98
	global_load_b128 v[13:16], v13, s[4:5]
	v_and_b32_e32 v4, 0xff, v71
	v_and_b32_e32 v5, 0xff, v70
	v_and_b32_e32 v7, 0xff, v67
	v_and_b32_e32 v8, 0xff, v66
	s_delay_alu instid0(VALU_DEP_4) | instskip(NEXT) | instid1(VALU_DEP_4)
	v_mul_lo_u16 v4, 0x4f, v4
	v_mul_lo_u16 v5, 0x4f, v5
	s_delay_alu instid0(VALU_DEP_4) | instskip(NEXT) | instid1(VALU_DEP_4)
	v_mul_lo_u16 v7, 0x4f, v7
	v_mul_lo_u16 v8, 0x4f, v8
	s_delay_alu instid0(VALU_DEP_4) | instskip(NEXT) | instid1(VALU_DEP_4)
	v_lshrrev_b16 v4, 10, v4
	v_lshrrev_b16 v5, 10, v5
	s_delay_alu instid0(VALU_DEP_4) | instskip(NEXT) | instid1(VALU_DEP_3)
	v_lshrrev_b16 v7, 10, v7
	v_mul_lo_u16 v4, v4, 13
	s_delay_alu instid0(VALU_DEP_3) | instskip(NEXT) | instid1(VALU_DEP_3)
	v_mul_lo_u16 v5, v5, 13
	v_mul_lo_u16 v7, v7, 13
	s_delay_alu instid0(VALU_DEP_3) | instskip(NEXT) | instid1(VALU_DEP_3)
	v_sub_nc_u16 v4, v71, v4
	v_sub_nc_u16 v5, v70, v5
	s_delay_alu instid0(VALU_DEP_3) | instskip(NEXT) | instid1(VALU_DEP_3)
	v_sub_nc_u16 v9, v67, v7
	v_and_b32_e32 v47, 0xff, v4
	v_lshrrev_b16 v4, 10, v8
	s_delay_alu instid0(VALU_DEP_4) | instskip(NEXT) | instid1(VALU_DEP_4)
	v_and_b32_e32 v97, 0xff, v5
	v_and_b32_e32 v99, 0xff, v9
	s_delay_alu instid0(VALU_DEP_4) | instskip(NEXT) | instid1(VALU_DEP_4)
	v_lshlrev_b32_e32 v5, 4, v47
	v_mul_lo_u16 v4, v4, 13
	s_delay_alu instid0(VALU_DEP_4)
	v_lshlrev_b32_e32 v10, 4, v97
	global_load_b128 v[5:8], v5, s[4:5]
	v_sub_nc_u16 v4, v66, v4
	global_load_b128 v[9:12], v10, s[4:5]
	v_and_b32_e32 v100, 0xff, v4
	v_lshlrev_b32_e32 v4, 4, v99
	s_delay_alu instid0(VALU_DEP_2)
	v_lshlrev_b32_e32 v21, 4, v100
	s_clause 0x1
	global_load_b128 v[17:20], v4, s[4:5]
	global_load_b128 v[21:24], v21, s[4:5]
	ds_load_b64 v[50:51], v73
	ds_load_2addr_b64 v[25:28], v74 offset0:78 offset1:91
	ds_load_2addr_b64 v[29:32], v74 offset0:182 offset1:195
	;; [unrolled: 1-line block ×9, first 2 shown]
	s_wait_loadcnt_dscnt 0x507
	v_mul_f32_e32 v102, v30, v3
	s_wait_dscnt 0x6
	v_dual_mul_f32 v103, v29, v3 :: v_dual_mul_f32 v104, v34, v1
	v_mul_f32_e32 v105, v32, v3
	v_dual_mul_f32 v3, v31, v3 :: v_dual_lshlrev_b32 v98, 3, v98
	v_fmac_f32_e32 v102, v29, v2
	v_lshlrev_b32_e32 v4, 3, v76
	v_dual_fmac_f32 v104, v33, v0 :: v_dual_lshlrev_b32 v47, 3, v47
	v_lshlrev_b32_e32 v99, 3, v99
	v_dual_fmac_f32 v105, v31, v2 :: v_dual_lshlrev_b32 v100, 3, v100
	v_fma_f32 v3, v32, v2, -v3
	v_lshlrev_b32_e32 v97, 3, v97
	v_add3_u32 v4, 0, v4, v75
	v_add3_u32 v47, 0, v47, v75
	;; [unrolled: 1-line block ×6, first 2 shown]
	v_mul_f32_e32 v100, v1, v28
	v_mul_f32_e32 v101, v1, v27
	;; [unrolled: 1-line block ×3, first 2 shown]
	v_add_f32_e32 v33, v104, v105
	s_delay_alu instid0(VALU_DEP_4) | instskip(NEXT) | instid1(VALU_DEP_4)
	v_fmac_f32_e32 v100, v0, v27
	v_fma_f32 v27, v0, v28, -v101
	v_fma_f32 v28, v30, v2, -v103
	v_lshlrev_b32_e32 v76, 3, v93
	ds_load_b64 v[93:94], v4
	ds_load_b64 v[95:96], v74 offset:2080
	v_fma_f32 v0, v34, v0, -v1
	v_add_f32_e32 v1, v50, v100
	v_dual_sub_f32 v29, v27, v28 :: v_dual_add_f32 v2, v100, v102
	v_add_f32_e32 v30, v51, v27
	v_add_f32_e32 v27, v27, v28
	v_sub_f32_e32 v31, v100, v102
	v_add_f32_e32 v101, v0, v3
	v_sub_f32_e32 v34, v0, v3
	v_sub_f32_e32 v103, v104, v105
	v_fma_f32 v50, -0.5, v2, v50
	global_wb scope:SCOPE_SE
	s_wait_loadcnt_dscnt 0x0
	s_barrier_signal -1
	s_barrier_wait -1
	global_inv scope:SCOPE_SE
	v_add_f32_e32 v32, v93, v104
	v_add_f32_e32 v100, v94, v0
	v_dual_add_f32 v0, v1, v102 :: v_dual_add_f32 v1, v30, v28
	v_dual_fmac_f32 v51, -0.5, v27 :: v_dual_fmac_f32 v94, -0.5, v101
	s_delay_alu instid0(VALU_DEP_4)
	v_add_f32_e32 v2, v32, v105
	v_fma_f32 v93, -0.5, v33, v93
	v_add_f32_e32 v3, v100, v3
	v_dual_mul_f32 v102, v80, v14 :: v_dual_fmamk_f32 v27, v29, 0xbf5db3d7, v50
	v_mul_f32_e32 v104, v86, v16
	v_mul_f32_e32 v14, v79, v14
	;; [unrolled: 1-line block ×3, first 2 shown]
	v_dual_mul_f32 v32, v36, v6 :: v_dual_mul_f32 v33, v42, v8
	v_mul_f32_e32 v6, v35, v6
	v_mul_f32_e32 v8, v41, v8
	v_dual_mul_f32 v100, v78, v10 :: v_dual_mul_f32 v101, v44, v12
	v_mul_f32_e32 v10, v77, v10
	v_dual_mul_f32 v12, v43, v12 :: v_dual_fmac_f32 v33, v41, v7
	s_delay_alu instid0(VALU_DEP_3) | instskip(SKIP_3) | instid1(VALU_DEP_3)
	v_fmac_f32_e32 v101, v43, v11
	v_dual_mul_f32 v105, v90, v18 :: v_dual_mul_f32 v106, v88, v20
	v_dual_mul_f32 v20, v87, v20 :: v_dual_mul_f32 v107, v92, v22
	v_fmac_f32_e32 v104, v85, v15
	v_dual_fmac_f32 v105, v89, v17 :: v_dual_fmac_f32 v106, v87, v19
	v_fmac_f32_e32 v102, v79, v13
	v_fmac_f32_e32 v32, v35, v5
	v_fmamk_f32 v28, v31, 0x3f5db3d7, v51
	v_fmac_f32_e32 v51, 0xbf5db3d7, v31
	v_fma_f32 v5, v36, v5, -v6
	v_fma_f32 v6, v42, v7, -v8
	;; [unrolled: 1-line block ×4, first 2 shown]
	v_mul_f32_e32 v18, v89, v18
	v_dual_mul_f32 v108, v96, v24 :: v_dual_fmac_f32 v107, v91, v21
	v_mul_f32_e32 v24, v95, v24
	v_fmac_f32_e32 v50, 0x3f5db3d7, v29
	v_dual_fmamk_f32 v29, v34, 0xbf5db3d7, v93 :: v_dual_fmac_f32 v100, v77, v9
	v_fma_f32 v9, v80, v13, -v14
	v_fmac_f32_e32 v93, 0x3f5db3d7, v34
	v_fma_f32 v12, v88, v19, -v20
	v_sub_f32_e32 v19, v7, v8
	v_fmamk_f32 v30, v103, 0x3f5db3d7, v94
	v_fmac_f32_e32 v94, 0xbf5db3d7, v103
	v_fma_f32 v10, v86, v15, -v16
	v_add_f32_e32 v15, v39, v100
	v_fma_f32 v11, v90, v17, -v18
	v_sub_f32_e32 v17, v32, v33
	ds_store_2addr_b64 v74, v[0:1], v[27:28] offset1:13
	ds_store_2addr_b64 v74, v[50:51], v[2:3] offset0:26 offset1:39
	ds_store_2addr_b64 v74, v[29:30], v[93:94] offset0:52 offset1:65
	v_add_f32_e32 v3, v38, v5
	v_fma_f32 v14, v96, v23, -v24
	v_dual_add_f32 v20, v40, v7 :: v_dual_add_f32 v7, v7, v8
	v_add_f32_e32 v27, v82, v9
	v_dual_add_f32 v31, v105, v106 :: v_dual_fmac_f32 v108, v95, v23
	v_sub_f32_e32 v29, v102, v104
	v_dual_add_f32 v23, v102, v104 :: v_dual_mul_f32 v22, v91, v22
	v_dual_add_f32 v1, v32, v33 :: v_dual_sub_f32 v16, v5, v6
	v_add_f32_e32 v35, v11, v12
	v_dual_add_f32 v5, v5, v6 :: v_dual_add_f32 v18, v100, v101
	v_add_f32_e32 v41, v25, v107
	v_fma_f32 v13, v92, v21, -v22
	v_add_f32_e32 v30, v83, v105
	v_add_f32_e32 v0, v37, v32
	v_dual_add_f32 v22, v81, v102 :: v_dual_sub_f32 v51, v107, v108
	v_add_f32_e32 v28, v9, v10
	v_fma_f32 v2, -0.5, v1, v37
	v_add_f32_e32 v1, v3, v6
	v_fma_f32 v3, -0.5, v5, v38
	v_fma_f32 v39, -0.5, v18, v39
	v_add_f32_e32 v42, v107, v108
	v_dual_sub_f32 v24, v9, v10 :: v_dual_add_f32 v5, v15, v101
	v_fma_f32 v9, -0.5, v23, v81
	v_dual_add_f32 v50, v13, v14 :: v_dual_sub_f32 v21, v100, v101
	v_dual_add_f32 v34, v84, v11 :: v_dual_sub_f32 v43, v13, v14
	v_add_f32_e32 v44, v26, v13
	v_fma_f32 v83, -0.5, v31, v83
	v_add_f32_e32 v13, v41, v108
	v_dual_sub_f32 v32, v11, v12 :: v_dual_add_f32 v11, v30, v106
	v_fmac_f32_e32 v40, -0.5, v7
	v_dual_sub_f32 v36, v105, v106 :: v_dual_fmamk_f32 v15, v16, 0xbf5db3d7, v2
	v_add_f32_e32 v7, v22, v104
	v_fmac_f32_e32 v2, 0x3f5db3d7, v16
	v_fmamk_f32 v16, v17, 0x3f5db3d7, v3
	v_fmac_f32_e32 v3, 0xbf5db3d7, v17
	v_fmamk_f32 v17, v19, 0xbf5db3d7, v39
	v_fmac_f32_e32 v39, 0x3f5db3d7, v19
	v_fma_f32 v25, -0.5, v42, v25
	v_add_f32_e32 v6, v20, v8
	v_add_f32_e32 v8, v27, v10
	v_fma_f32 v10, -0.5, v28, v82
	v_fmac_f32_e32 v84, -0.5, v35
	v_add_f32_e32 v0, v0, v33
	v_fmamk_f32 v19, v24, 0xbf5db3d7, v9
	v_dual_fmac_f32 v9, 0x3f5db3d7, v24 :: v_dual_fmac_f32 v26, -0.5, v50
	v_fmamk_f32 v18, v21, 0x3f5db3d7, v40
	v_fmamk_f32 v20, v29, 0x3f5db3d7, v10
	v_add_f32_e32 v12, v34, v12
	v_dual_fmac_f32 v40, 0xbf5db3d7, v21 :: v_dual_fmamk_f32 v21, v32, 0xbf5db3d7, v83
	v_fmamk_f32 v22, v36, 0x3f5db3d7, v84
	v_add_f32_e32 v14, v44, v14
	v_fmac_f32_e32 v10, 0xbf5db3d7, v29
	v_fmac_f32_e32 v83, 0x3f5db3d7, v32
	v_dual_fmac_f32 v84, 0xbf5db3d7, v36 :: v_dual_fmamk_f32 v23, v43, 0xbf5db3d7, v25
	v_dual_fmac_f32 v25, 0x3f5db3d7, v43 :: v_dual_fmamk_f32 v24, v51, 0x3f5db3d7, v26
	v_fmac_f32_e32 v26, 0xbf5db3d7, v51
	ds_store_2addr_b64 v47, v[0:1], v[15:16] offset0:78 offset1:91
	ds_store_2addr_b64 v97, v[5:6], v[17:18] offset0:117 offset1:130
	ds_store_2addr_b64 v98, v[7:8], v[19:20] offset0:156 offset1:169
	ds_store_2addr_b64 v99, v[11:12], v[21:22] offset0:195 offset1:208
	ds_store_b64 v47, v[2:3] offset:832
	ds_store_b64 v97, v[39:40] offset:1144
	;; [unrolled: 1-line block ×4, first 2 shown]
	ds_store_2addr_b64 v75, v[13:14], v[23:24] offset0:234 offset1:247
	ds_store_b64 v75, v[25:26] offset:2080
	v_add_co_u32 v0, s0, s4, v45
	s_wait_alu 0xf1ff
	v_add_co_ci_u32_e64 v1, s0, s5, v46, s0
	global_wb scope:SCOPE_SE
	s_wait_dscnt 0x0
	s_barrier_signal -1
	s_barrier_wait -1
	global_inv scope:SCOPE_SE
	s_clause 0x8
	global_load_b128 v[5:8], v76, s[4:5] offset:208
	global_load_b128 v[9:12], v76, s[4:5] offset:224
	;; [unrolled: 1-line block ×3, first 2 shown]
	global_load_b128 v[17:20], v[0:1], off offset:208
	global_load_b128 v[21:24], v[0:1], off offset:224
	;; [unrolled: 1-line block ×3, first 2 shown]
	global_load_b128 v[29:32], v76, s[4:5] offset:1456
	global_load_b128 v[33:36], v76, s[4:5] offset:1472
	;; [unrolled: 1-line block ×3, first 2 shown]
	ds_load_2addr_b64 v[0:3], v74 offset0:26 offset1:39
	ds_load_2addr_b64 v[41:44], v74 offset0:78 offset1:91
	;; [unrolled: 1-line block ×5, first 2 shown]
	ds_load_b64 v[45:46], v73
	ds_load_2addr_b64 v[87:90], v74 offset0:234 offset1:247
	ds_load_2addr_b64 v[91:94], v74 offset0:52 offset1:65
	;; [unrolled: 1-line block ×4, first 2 shown]
	ds_load_b64 v[50:51], v4
	ds_load_b64 v[103:104], v74 offset:2080
	global_wb scope:SCOPE_SE
	s_wait_loadcnt_dscnt 0x0
	s_barrier_signal -1
	s_barrier_wait -1
	global_inv scope:SCOPE_SE
	v_mul_f32_e32 v109, v88, v16
	v_mul_f32_e32 v111, v44, v20
	;; [unrolled: 1-line block ×5, first 2 shown]
	v_dual_mul_f32 v6, v6, v2 :: v_dual_fmac_f32 v109, v87, v15
	v_mul_f32_e32 v105, v8, v42
	v_dual_mul_f32 v8, v8, v41 :: v_dual_fmac_f32 v111, v43, v19
	v_dual_mul_f32 v117, v76, v32 :: v_dual_mul_f32 v108, v86, v14
	v_dual_mul_f32 v119, v84, v36 :: v_dual_mul_f32 v14, v85, v14
	v_mul_f32_e32 v107, v12, v80
	v_dual_fmac_f32 v47, v5, v2 :: v_dual_mul_f32 v12, v12, v79
	v_mul_f32_e32 v112, v96, v22
	v_fma_f32 v2, v5, v3, -v6
	v_fmac_f32_e32 v105, v7, v41
	v_fma_f32 v3, v7, v42, -v8
	v_fmac_f32_e32 v119, v83, v35
	v_fma_f32 v7, v86, v13, -v14
	v_mul_f32_e32 v24, v81, v24
	v_dual_mul_f32 v106, v10, v78 :: v_dual_fmac_f32 v113, v81, v23
	v_fma_f32 v6, v11, v80, -v12
	v_dual_mul_f32 v10, v10, v77 :: v_dual_fmac_f32 v115, v89, v27
	s_delay_alu instid0(VALU_DEP_4)
	v_fma_f32 v12, v82, v23, -v24
	v_sub_f32_e32 v23, v47, v109
	v_add_f32_e32 v24, v3, v7
	v_sub_f32_e32 v3, v3, v7
	v_fmac_f32_e32 v112, v95, v21
	v_mul_f32_e32 v114, v100, v26
	v_dual_mul_f32 v26, v99, v26 :: v_dual_mul_f32 v121, v104, v40
	v_dual_mul_f32 v110, v92, v18 :: v_dual_fmac_f32 v107, v11, v79
	s_delay_alu instid0(VALU_DEP_3) | instskip(SKIP_4) | instid1(VALU_DEP_4)
	v_fmac_f32_e32 v114, v99, v25
	v_fmac_f32_e32 v106, v9, v77
	v_dual_mul_f32 v28, v89, v28 :: v_dual_fmac_f32 v117, v75, v31
	v_fmac_f32_e32 v108, v85, v13
	v_mul_f32_e32 v18, v91, v18
	v_dual_mul_f32 v16, v87, v16 :: v_dual_add_f32 v7, v106, v107
	v_mul_f32_e32 v116, v94, v30
	v_fma_f32 v5, v9, v78, -v10
	v_fma_f32 v13, v100, v25, -v26
	;; [unrolled: 1-line block ×3, first 2 shown]
	v_sub_f32_e32 v25, v105, v108
	v_fma_f32 v9, v92, v17, -v18
	v_mul_f32_e32 v32, v75, v32
	v_mul_f32_e32 v36, v83, v36
	v_fma_f32 v8, v88, v15, -v16
	v_fmac_f32_e32 v121, v103, v39
	v_fmac_f32_e32 v110, v91, v17
	v_mul_f32_e32 v22, v95, v22
	v_add_f32_e32 v28, v9, v14
	v_sub_f32_e32 v9, v9, v14
	v_fma_f32 v16, v76, v31, -v32
	v_sub_f32_e32 v31, v111, v114
	v_dual_sub_f32 v27, v107, v106 :: v_dual_fmac_f32 v116, v93, v29
	v_mul_f32_e32 v30, v93, v30
	v_mul_f32_e32 v20, v43, v20
	v_fma_f32 v18, v84, v35, -v36
	s_delay_alu instid0(VALU_DEP_4)
	v_add_f32_e32 v43, v27, v25
	v_sub_f32_e32 v35, v116, v121
	v_fma_f32 v15, v94, v29, -v30
	v_sub_f32_e32 v29, v110, v115
	v_fma_f32 v11, v96, v21, -v22
	v_add_f32_e32 v21, v47, v109
	v_mul_f32_e32 v40, v103, v40
	v_dual_add_f32 v26, v5, v6 :: v_dual_sub_f32 v5, v6, v5
	v_fma_f32 v10, v44, v19, -v20
	v_dual_add_f32 v22, v2, v8 :: v_dual_sub_f32 v47, v27, v25
	s_delay_alu instid0(VALU_DEP_4)
	v_fma_f32 v20, v104, v39, -v40
	v_mul_f32_e32 v118, v98, v34
	v_mul_f32_e32 v34, v97, v34
	v_add_f32_e32 v44, v5, v3
	v_sub_f32_e32 v75, v5, v3
	v_sub_f32_e32 v27, v23, v27
	;; [unrolled: 1-line block ×3, first 2 shown]
	v_fma_f32 v17, v98, v33, -v34
	v_add_f32_e32 v34, v15, v20
	v_dual_add_f32 v32, v11, v12 :: v_dual_sub_f32 v11, v12, v11
	v_add_f32_e32 v30, v10, v13
	v_sub_f32_e32 v10, v10, v13
	v_sub_f32_e32 v2, v2, v8
	v_dual_sub_f32 v15, v15, v20 :: v_dual_fmac_f32 v118, v97, v33
	s_delay_alu instid0(VALU_DEP_4) | instskip(NEXT) | instid1(VALU_DEP_4)
	v_add_f32_e32 v77, v30, v28
	v_add_f32_e32 v81, v11, v10
	s_delay_alu instid0(VALU_DEP_4)
	v_sub_f32_e32 v5, v2, v5
	v_add_f32_e32 v13, v112, v113
	v_dual_sub_f32 v39, v119, v118 :: v_dual_add_f32 v8, v105, v108
	v_mul_f32_e32 v120, v102, v38
	v_mul_f32_e32 v38, v101, v38
	v_dual_sub_f32 v33, v113, v112 :: v_dual_add_f32 v14, v111, v114
	s_delay_alu instid0(VALU_DEP_4) | instskip(NEXT) | instid1(VALU_DEP_4)
	v_sub_f32_e32 v41, v8, v21
	v_fmac_f32_e32 v120, v101, v37
	s_delay_alu instid0(VALU_DEP_4) | instskip(SKIP_2) | instid1(VALU_DEP_3)
	v_fma_f32 v19, v102, v37, -v38
	v_dual_add_f32 v38, v17, v18 :: v_dual_add_f32 v23, v43, v23
	v_sub_f32_e32 v17, v18, v17
	v_dual_sub_f32 v37, v117, v120 :: v_dual_add_f32 v36, v16, v19
	v_add_f32_e32 v18, v8, v21
	v_sub_f32_e32 v16, v16, v19
	v_add_f32_e32 v20, v117, v120
	v_dual_sub_f32 v21, v21, v7 :: v_dual_sub_f32 v8, v7, v8
	v_add_f32_e32 v88, v39, v37
	v_dual_add_f32 v7, v7, v18 :: v_dual_add_f32 v12, v116, v121
	v_add_f32_e32 v89, v17, v16
	v_sub_f32_e32 v91, v17, v16
	v_sub_f32_e32 v17, v15, v17
	v_dual_sub_f32 v90, v39, v37 :: v_dual_sub_f32 v37, v37, v35
	v_dual_add_f32 v85, v36, v34 :: v_dual_add_f32 v6, v110, v115
	v_sub_f32_e32 v83, v11, v10
	v_dual_sub_f32 v76, v3, v2 :: v_dual_sub_f32 v11, v9, v11
	v_dual_sub_f32 v87, v36, v34 :: v_dual_sub_f32 v36, v38, v36
	v_add_f32_e32 v80, v33, v31
	v_sub_f32_e32 v39, v35, v39
	v_dual_sub_f32 v79, v30, v28 :: v_dual_add_f32 v40, v24, v22
	v_dual_mul_f32 v21, 0x3f4a47b2, v21 :: v_dual_sub_f32 v30, v32, v30
	v_sub_f32_e32 v16, v16, v15
	v_sub_f32_e32 v82, v33, v31
	v_sub_f32_e32 v33, v29, v33
	v_add_f32_e32 v3, v14, v6
	v_dual_sub_f32 v78, v14, v6 :: v_dual_mul_f32 v83, 0x3f08b237, v83
	v_dual_add_f32 v15, v89, v15 :: v_dual_sub_f32 v6, v6, v13
	v_dual_sub_f32 v42, v24, v22 :: v_dual_sub_f32 v31, v31, v29
	v_sub_f32_e32 v22, v22, v26
	v_sub_f32_e32 v28, v28, v32
	v_dual_sub_f32 v10, v10, v9 :: v_dual_add_f32 v35, v88, v35
	v_dual_add_f32 v84, v20, v12 :: v_dual_mul_f32 v89, 0x3f08b237, v91
	v_add_f32_e32 v18, v26, v40
	v_add_f32_e32 v32, v32, v77
	;; [unrolled: 1-line block ×3, first 2 shown]
	v_mul_f32_e32 v81, 0x3d64c772, v30
	v_mul_f32_e32 v77, 0x3f4a47b2, v6
	;; [unrolled: 1-line block ×4, first 2 shown]
	v_sub_f32_e32 v34, v34, v38
	v_dual_add_f32 v38, v38, v85 :: v_dual_mul_f32 v85, 0x3d64c772, v36
	v_dual_sub_f32 v24, v26, v24 :: v_dual_add_f32 v29, v80, v29
	v_add_f32_e32 v26, v44, v2
	v_dual_add_f32 v2, v7, v45 :: v_dual_add_f32 v19, v118, v119
	v_sub_f32_e32 v14, v13, v14
	v_mul_f32_e32 v44, 0x3f08b237, v47
	v_mul_f32_e32 v47, 0x3f08b237, v75
	;; [unrolled: 1-line block ×3, first 2 shown]
	v_add_f32_e32 v13, v13, v3
	v_fmamk_f32 v7, v7, 0xbf955555, v2
	v_mul_f32_e32 v40, 0x3d64c772, v8
	v_fmamk_f32 v8, v8, 0x3d64c772, v21
	v_fma_f32 v21, 0xbf3bfb3b, v41, -v21
	v_dual_sub_f32 v86, v20, v12 :: v_dual_add_f32 v3, v18, v46
	v_sub_f32_e32 v12, v12, v19
	v_mul_f32_e32 v22, 0x3f4a47b2, v22
	v_mul_f32_e32 v43, 0x3d64c772, v24
	v_fma_f32 v25, 0xbf5ff5aa, v25, -v44
	v_add_f32_e32 v21, v21, v7
	v_fma_f32 v40, 0x3f3bfb3b, v41, -v40
	v_mul_f32_e32 v92, 0xbf5ff5aa, v76
	v_fmamk_f32 v41, v27, 0xbeae86e6, v44
	v_fma_f32 v44, 0xbf5ff5aa, v76, -v47
	v_fma_f32 v27, 0x3eae86e6, v27, -v75
	v_fmamk_f32 v75, v11, 0xbeae86e6, v83
	v_fma_f32 v76, 0xbf5ff5aa, v10, -v83
	v_sub_f32_e32 v20, v19, v20
	v_fma_f32 v43, 0x3f3bfb3b, v42, -v43
	v_fma_f32 v45, 0x3eae86e6, v5, -v92
	v_dual_fmac_f32 v41, 0xbee1c552, v23 :: v_dual_fmac_f32 v44, 0xbee1c552, v26
	v_fmac_f32_e32 v75, 0xbee1c552, v9
	v_fmamk_f32 v24, v24, 0x3d64c772, v22
	v_fma_f32 v22, 0xbf3bfb3b, v42, -v22
	v_fmac_f32_e32 v76, 0xbee1c552, v9
	v_fmamk_f32 v42, v5, 0xbeae86e6, v47
	v_add_f32_e32 v5, v13, v50
	v_dual_mul_f32 v93, 0xbf5ff5aa, v31 :: v_dual_mul_f32 v94, 0xbf5ff5aa, v10
	v_add_f32_e32 v19, v19, v84
	v_fma_f32 v50, 0xbf3bfb3b, v78, -v77
	v_fmac_f32_e32 v25, 0xbee1c552, v23
	v_dual_add_f32 v6, v32, v51 :: v_dual_fmamk_f32 v13, v13, 0xbf955555, v5
	v_mul_f32_e32 v80, 0x3d64c772, v14
	v_fmamk_f32 v14, v14, 0x3d64c772, v77
	v_mul_f32_e32 v28, 0x3f4a47b2, v28
	v_fmamk_f32 v51, v33, 0xbeae86e6, v82
	v_fma_f32 v31, 0xbf5ff5aa, v31, -v82
	v_fma_f32 v46, 0x3f3bfb3b, v78, -v80
	v_fma_f32 v33, 0x3eae86e6, v33, -v93
	v_fma_f32 v77, 0x3eae86e6, v11, -v94
	v_add_f32_e32 v0, v19, v0
	v_fma_f32 v47, 0x3f3bfb3b, v79, -v81
	v_dual_fmac_f32 v42, 0xbee1c552, v26 :: v_dual_fmac_f32 v51, 0xbee1c552, v29
	v_fmac_f32_e32 v27, 0xbee1c552, v23
	v_add_f32_e32 v1, v38, v1
	v_fmac_f32_e32 v45, 0xbee1c552, v26
	v_fmac_f32_e32 v31, 0xbee1c552, v29
	;; [unrolled: 1-line block ×4, first 2 shown]
	v_fmamk_f32 v9, v19, 0xbf955555, v0
	v_add_f32_e32 v19, v8, v7
	v_add_f32_e32 v29, v14, v13
	;; [unrolled: 1-line block ×3, first 2 shown]
	v_fmamk_f32 v30, v30, 0x3d64c772, v28
	v_fma_f32 v28, 0xbf3bfb3b, v79, -v28
	v_fmamk_f32 v79, v17, 0xbeae86e6, v89
	v_mul_f32_e32 v88, 0x3f08b237, v90
	v_mul_f32_e32 v90, 0xbf5ff5aa, v37
	;; [unrolled: 1-line block ×4, first 2 shown]
	v_fmac_f32_e32 v79, 0xbee1c552, v15
	v_fmamk_f32 v78, v39, 0xbeae86e6, v88
	v_fma_f32 v80, 0xbf5ff5aa, v37, -v88
	v_fma_f32 v37, 0xbf5ff5aa, v16, -v89
	;; [unrolled: 1-line block ×4, first 2 shown]
	v_dual_fmamk_f32 v16, v18, 0xbf955555, v3 :: v_dual_fmamk_f32 v17, v32, 0xbf955555, v6
	s_delay_alu instid0(VALU_DEP_4) | instskip(SKIP_1) | instid1(VALU_DEP_4)
	v_fmac_f32_e32 v37, 0xbee1c552, v15
	v_fmac_f32_e32 v80, 0xbee1c552, v35
	;; [unrolled: 1-line block ×3, first 2 shown]
	s_delay_alu instid0(VALU_DEP_4)
	v_dual_add_f32 v15, v40, v7 :: v_dual_add_f32 v32, v47, v17
	v_mul_f32_e32 v84, 0x3d64c772, v20
	v_dual_fmac_f32 v81, 0xbee1c552, v35 :: v_dual_add_f32 v30, v30, v17
	v_dual_add_f32 v28, v28, v17 :: v_dual_add_f32 v7, v42, v19
	v_sub_f32_e32 v17, v19, v42
	v_add_f32_e32 v19, v75, v29
	v_add_f32_e32 v23, v24, v16
	v_dual_add_f32 v24, v43, v16 :: v_dual_sub_f32 v29, v29, v75
	v_dual_fmac_f32 v78, 0xbee1c552, v35 :: v_dual_add_f32 v35, v50, v13
	v_fmamk_f32 v10, v20, 0x3d64c772, v12
	v_fma_f32 v12, 0xbf3bfb3b, v86, -v12
	v_add_f32_e32 v13, v44, v15
	v_fma_f32 v20, 0x3f3bfb3b, v86, -v84
	v_fmamk_f32 v18, v38, 0xbf955555, v1
	v_add_f32_e32 v43, v10, v9
	v_add_f32_e32 v47, v12, v9
	v_sub_f32_e32 v8, v23, v41
	v_add_f32_e32 v38, v20, v9
	v_add_f32_e32 v9, v45, v21
	v_fmamk_f32 v11, v36, 0x3d64c772, v34
	v_fma_f32 v36, 0x3f3bfb3b, v87, -v85
	v_fma_f32 v34, 0xbf3bfb3b, v87, -v34
	v_add_f32_e32 v12, v25, v24
	v_sub_f32_e32 v14, v24, v25
	v_add_f32_e32 v46, v11, v18
	v_add_f32_e32 v40, v36, v18
	;; [unrolled: 1-line block ×4, first 2 shown]
	v_sub_f32_e32 v41, v43, v79
	v_sub_f32_e32 v23, v26, v76
	v_dual_add_f32 v24, v31, v32 :: v_dual_add_f32 v25, v76, v26
	v_sub_f32_e32 v26, v32, v31
	v_dual_add_f32 v31, v79, v43 :: v_dual_add_f32 v16, v22, v16
	v_sub_f32_e32 v11, v15, v44
	v_dual_sub_f32 v15, v21, v45 :: v_dual_sub_f32 v20, v30, v51
	v_add_f32_e32 v21, v77, v35
	s_delay_alu instid0(VALU_DEP_4)
	v_sub_f32_e32 v10, v16, v27
	v_add_f32_e32 v16, v27, v16
	v_sub_f32_e32 v27, v35, v77
	v_add_f32_e32 v30, v51, v30
	v_sub_f32_e32 v34, v50, v81
	v_sub_f32_e32 v35, v38, v37
	;; [unrolled: 1-line block ×3, first 2 shown]
	v_dual_add_f32 v36, v80, v40 :: v_dual_add_f32 v37, v37, v38
	v_sub_f32_e32 v22, v28, v33
	v_dual_add_f32 v28, v33, v28 :: v_dual_add_f32 v33, v39, v47
	v_dual_sub_f32 v38, v40, v80 :: v_dual_sub_f32 v39, v47, v39
	v_add_f32_e32 v40, v81, v50
	v_add_f32_e32 v42, v78, v46
	ds_store_b64 v74, v[2:3]
	ds_store_b64 v74, v[7:8] offset:312
	ds_store_b64 v74, v[9:10] offset:624
	;; [unrolled: 1-line block ×6, first 2 shown]
	ds_store_2addr_b64 v4, v[5:6], v[19:20] offset1:39
	ds_store_2addr_b64 v4, v[21:22], v[23:24] offset0:78 offset1:117
	ds_store_2addr_b64 v4, v[25:26], v[27:28] offset0:156 offset1:195
	ds_store_b64 v4, v[29:30] offset:1872
	ds_store_b64 v74, v[0:1] offset:208
	;; [unrolled: 1-line block ×8, first 2 shown]
	global_wb scope:SCOPE_SE
	s_wait_dscnt 0x0
	s_barrier_signal -1
	s_barrier_wait -1
	global_inv scope:SCOPE_SE
	s_and_saveexec_b32 s0, vcc_lo
	s_cbranch_execz .LBB0_17
; %bb.16:
	v_mad_co_u64_u32 v[4:5], null, s8, v72, 0
	v_mad_co_u64_u32 v[6:7], null, s8, v69, 0
	;; [unrolled: 1-line block ×3, first 2 shown]
	ds_load_2addr_b64 v[0:3], v73 offset1:13
	v_add_co_u32 v23, vcc_lo, s10, v48
	s_wait_alu 0xfffd
	v_add_co_ci_u32_e32 v24, vcc_lo, s11, v49, vcc_lo
	v_mad_co_u64_u32 v[10:11], null, s9, v72, v[5:6]
	v_mad_co_u64_u32 v[11:12], null, s8, v70, 0
	;; [unrolled: 1-line block ×4, first 2 shown]
	s_delay_alu instid0(VALU_DEP_4) | instskip(SKIP_2) | instid1(VALU_DEP_2)
	v_mov_b32_e32 v5, v10
	v_mov_b32_e32 v7, v9
	;; [unrolled: 1-line block ×3, first 2 shown]
	v_mad_co_u64_u32 v[16:17], null, s9, v71, v[7:8]
	v_mov_b32_e32 v7, v13
	s_delay_alu instid0(VALU_DEP_3) | instskip(SKIP_2) | instid1(VALU_DEP_4)
	v_mad_co_u64_u32 v[12:13], null, s9, v70, v[9:10]
	v_mov_b32_e32 v10, v15
	v_lshlrev_b64_e32 v[4:5], 3, v[4:5]
	v_lshlrev_b64_e32 v[6:7], 3, v[6:7]
	v_mov_b32_e32 v9, v16
	v_mad_co_u64_u32 v[16:17], null, s8, v67, 0
	v_lshlrev_b64_e32 v[11:12], 3, v[11:12]
	v_add_co_u32 v4, vcc_lo, v23, v4
	s_wait_alu 0xfffd
	v_add_co_ci_u32_e32 v5, vcc_lo, v24, v5, vcc_lo
	v_lshlrev_b64_e32 v[8:9], 3, v[8:9]
	s_delay_alu instid0(VALU_DEP_4)
	v_mad_co_u64_u32 v[18:19], null, s9, v68, v[10:11]
	s_wait_dscnt 0x0
	global_store_b64 v[4:5], v[0:1], off
	v_add_co_u32 v0, vcc_lo, v23, v6
	s_wait_alu 0xfffd
	v_add_co_ci_u32_e32 v1, vcc_lo, v24, v7, vcc_lo
	ds_load_2addr_b64 v[4:7], v73 offset0:26 offset1:39
	v_add_co_u32 v8, vcc_lo, v23, v8
	s_wait_alu 0xfffd
	v_add_co_ci_u32_e32 v9, vcc_lo, v24, v9, vcc_lo
	v_mad_co_u64_u32 v[19:20], null, s8, v66, 0
	v_add_co_u32 v11, vcc_lo, v23, v11
	v_mov_b32_e32 v15, v18
	s_wait_alu 0xfffd
	v_add_co_ci_u32_e32 v12, vcc_lo, v24, v12, vcc_lo
	global_store_b64 v[0:1], v[2:3], off
	s_wait_dscnt 0x0
	s_clause 0x1
	global_store_b64 v[8:9], v[4:5], off
	global_store_b64 v[11:12], v[6:7], off
	v_lshlrev_b64_e32 v[5:6], 3, v[14:15]
	v_mov_b32_e32 v10, v17
	v_mov_b32_e32 v4, v20
	ds_load_2addr_b64 v[0:3], v73 offset0:52 offset1:65
	v_mad_co_u64_u32 v[14:15], null, s8, v65, 0
	v_mad_co_u64_u32 v[21:22], null, s9, v67, v[10:11]
	;; [unrolled: 1-line block ×4, first 2 shown]
	v_add_co_u32 v10, vcc_lo, v23, v5
	s_delay_alu instid0(VALU_DEP_4)
	v_mov_b32_e32 v17, v21
	s_wait_alu 0xfffd
	v_add_co_ci_u32_e32 v11, vcc_lo, v24, v6, vcc_lo
	v_mov_b32_e32 v20, v7
	ds_load_2addr_b64 v[4:7], v73 offset0:78 offset1:91
	v_lshlrev_b64_e32 v[12:13], 3, v[16:17]
	v_lshlrev_b64_e32 v[16:17], 3, v[19:20]
	v_mad_co_u64_u32 v[18:19], null, s9, v64, v[9:10]
	s_delay_alu instid0(VALU_DEP_3) | instskip(SKIP_1) | instid1(VALU_DEP_4)
	v_add_co_u32 v12, vcc_lo, v23, v12
	s_wait_alu 0xfffd
	v_add_co_ci_u32_e32 v13, vcc_lo, v24, v13, vcc_lo
	s_delay_alu instid0(VALU_DEP_4)
	v_mad_co_u64_u32 v[19:20], null, s9, v65, v[15:16]
	v_mad_co_u64_u32 v[20:21], null, s8, v63, 0
	v_mov_b32_e32 v9, v18
	v_add_co_u32 v15, vcc_lo, v23, v16
	s_wait_dscnt 0x1
	s_clause 0x1
	global_store_b64 v[10:11], v[0:1], off
	global_store_b64 v[12:13], v[2:3], off
	s_wait_alu 0xfffd
	v_add_co_ci_u32_e32 v16, vcc_lo, v24, v17, vcc_lo
	v_lshlrev_b64_e32 v[1:2], 3, v[8:9]
	v_mov_b32_e32 v0, v21
	v_mad_co_u64_u32 v[8:9], null, s8, v62, 0
	s_wait_dscnt 0x0
	global_store_b64 v[15:16], v[4:5], off
	v_mov_b32_e32 v15, v19
	v_mad_co_u64_u32 v[4:5], null, s9, v63, v[0:1]
	v_add_co_u32 v10, vcc_lo, v23, v1
	s_delay_alu instid0(VALU_DEP_3)
	v_lshlrev_b64_e32 v[12:13], 3, v[14:15]
	v_mad_co_u64_u32 v[14:15], null, s8, v61, 0
	s_wait_alu 0xfffd
	v_add_co_ci_u32_e32 v11, vcc_lo, v24, v2, vcc_lo
	v_dual_mov_b32 v21, v4 :: v_dual_mov_b32 v4, v9
	ds_load_2addr_b64 v[0:3], v73 offset0:104 offset1:117
	v_mad_co_u64_u32 v[18:19], null, s8, v60, 0
	v_lshlrev_b64_e32 v[16:17], 3, v[20:21]
	v_mad_co_u64_u32 v[4:5], null, s9, v62, v[4:5]
	v_mov_b32_e32 v5, v15
	global_store_b64 v[10:11], v[6:7], off
	v_add_co_u32 v12, vcc_lo, v23, v12
	s_wait_alu 0xfffd
	v_add_co_ci_u32_e32 v13, vcc_lo, v24, v13, vcc_lo
	v_mov_b32_e32 v9, v4
	v_mad_co_u64_u32 v[20:21], null, s9, v61, v[5:6]
	v_mov_b32_e32 v4, v19
	v_add_co_u32 v15, vcc_lo, v23, v16
	s_delay_alu instid0(VALU_DEP_4)
	v_lshlrev_b64_e32 v[5:6], 3, v[8:9]
	s_wait_alu 0xfffd
	v_add_co_ci_u32_e32 v16, vcc_lo, v24, v17, vcc_lo
	s_wait_dscnt 0x0
	s_clause 0x1
	global_store_b64 v[12:13], v[0:1], off
	global_store_b64 v[15:16], v[2:3], off
	v_mad_co_u64_u32 v[7:8], null, s9, v60, v[4:5]
	v_mov_b32_e32 v15, v20
	v_add_co_u32 v10, vcc_lo, v23, v5
	ds_load_2addr_b64 v[0:3], v73 offset0:130 offset1:143
	s_wait_alu 0xfffd
	v_add_co_ci_u32_e32 v11, vcc_lo, v24, v6, vcc_lo
	v_mov_b32_e32 v19, v7
	ds_load_2addr_b64 v[4:7], v73 offset0:156 offset1:169
	v_mad_co_u64_u32 v[8:9], null, s8, v58, 0
	v_lshlrev_b64_e32 v[12:13], 3, v[14:15]
	v_mad_co_u64_u32 v[14:15], null, s8, v59, 0
	v_lshlrev_b64_e32 v[16:17], 3, v[18:19]
	s_delay_alu instid0(VALU_DEP_3) | instskip(SKIP_1) | instid1(VALU_DEP_3)
	v_add_co_u32 v12, vcc_lo, v23, v12
	v_mad_co_u64_u32 v[18:19], null, s9, v58, v[9:10]
	v_mad_co_u64_u32 v[19:20], null, s9, v59, v[15:16]
	s_wait_alu 0xfffd
	v_add_co_ci_u32_e32 v13, vcc_lo, v24, v13, vcc_lo
	v_mad_co_u64_u32 v[20:21], null, s8, v57, 0
	v_add_co_u32 v16, vcc_lo, v23, v16
	s_wait_alu 0xfffd
	v_add_co_ci_u32_e32 v17, vcc_lo, v24, v17, vcc_lo
	s_wait_dscnt 0x1
	s_clause 0x1
	global_store_b64 v[10:11], v[0:1], off
	global_store_b64 v[12:13], v[2:3], off
	v_mov_b32_e32 v9, v18
	ds_load_2addr_b64 v[0:3], v73 offset0:182 offset1:195
	s_wait_dscnt 0x1
	global_store_b64 v[16:17], v[4:5], off
	v_mov_b32_e32 v4, v21
	v_mad_co_u64_u32 v[12:13], null, s8, v56, 0
	v_mov_b32_e32 v15, v19
	v_lshlrev_b64_e32 v[8:9], 3, v[8:9]
	s_delay_alu instid0(VALU_DEP_4) | instskip(SKIP_1) | instid1(VALU_DEP_4)
	v_mad_co_u64_u32 v[4:5], null, s9, v57, v[4:5]
	v_mad_co_u64_u32 v[16:17], null, s8, v52, 0
	v_lshlrev_b64_e32 v[10:11], 3, v[14:15]
	s_delay_alu instid0(VALU_DEP_4) | instskip(SKIP_3) | instid1(VALU_DEP_4)
	v_add_co_u32 v8, vcc_lo, v23, v8
	s_wait_alu 0xfffd
	v_add_co_ci_u32_e32 v9, vcc_lo, v24, v9, vcc_lo
	v_dual_mov_b32 v21, v4 :: v_dual_mov_b32 v4, v13
	v_add_co_u32 v10, vcc_lo, v23, v10
	v_mad_co_u64_u32 v[14:15], null, s8, v55, 0
	s_delay_alu instid0(VALU_DEP_3)
	v_mad_co_u64_u32 v[4:5], null, s9, v56, v[4:5]
	s_wait_alu 0xfffd
	v_add_co_ci_u32_e32 v11, vcc_lo, v24, v11, vcc_lo
	global_store_b64 v[8:9], v[6:7], off
	s_wait_dscnt 0x0
	global_store_b64 v[10:11], v[0:1], off
	v_mad_co_u64_u32 v[8:9], null, s8, v54, 0
	v_mov_b32_e32 v5, v15
	v_mad_co_u64_u32 v[10:11], null, s8, v53, 0
	v_mov_b32_e32 v13, v4
	v_lshlrev_b64_e32 v[0:1], 3, v[20:21]
	s_delay_alu instid0(VALU_DEP_4) | instskip(SKIP_1) | instid1(VALU_DEP_4)
	v_mad_co_u64_u32 v[5:6], null, s9, v55, v[5:6]
	v_mov_b32_e32 v6, v9
	v_lshlrev_b64_e32 v[12:13], 3, v[12:13]
	v_mov_b32_e32 v4, v11
	v_add_co_u32 v0, vcc_lo, v23, v0
	s_wait_alu 0xfffd
	v_add_co_ci_u32_e32 v1, vcc_lo, v24, v1, vcc_lo
	v_mad_co_u64_u32 v[6:7], null, s9, v54, v[6:7]
	v_add_co_u32 v12, vcc_lo, v23, v12
	v_mov_b32_e32 v11, v17
	v_mad_co_u64_u32 v[18:19], null, s9, v53, v[4:5]
	v_mov_b32_e32 v15, v5
	global_store_b64 v[0:1], v[2:3], off
	v_mad_co_u64_u32 v[19:20], null, s9, v52, v[11:12]
	ds_load_2addr_b64 v[0:3], v73 offset0:208 offset1:221
	v_mov_b32_e32 v9, v6
	v_lshlrev_b64_e32 v[14:15], 3, v[14:15]
	ds_load_2addr_b64 v[4:7], v73 offset0:234 offset1:247
	v_mov_b32_e32 v11, v18
	ds_load_b64 v[20:21], v73 offset:2080
	v_lshlrev_b64_e32 v[8:9], 3, v[8:9]
	v_mov_b32_e32 v17, v19
	s_wait_alu 0xfffd
	v_add_co_ci_u32_e32 v13, vcc_lo, v24, v13, vcc_lo
	v_add_co_u32 v14, vcc_lo, v23, v14
	v_lshlrev_b64_e32 v[10:11], 3, v[10:11]
	s_wait_alu 0xfffd
	v_add_co_ci_u32_e32 v15, vcc_lo, v24, v15, vcc_lo
	v_add_co_u32 v8, vcc_lo, v23, v8
	v_lshlrev_b64_e32 v[16:17], 3, v[16:17]
	s_wait_alu 0xfffd
	v_add_co_ci_u32_e32 v9, vcc_lo, v24, v9, vcc_lo
	v_add_co_u32 v10, vcc_lo, v23, v10
	s_wait_alu 0xfffd
	v_add_co_ci_u32_e32 v11, vcc_lo, v24, v11, vcc_lo
	v_add_co_u32 v16, vcc_lo, v23, v16
	s_wait_alu 0xfffd
	v_add_co_ci_u32_e32 v17, vcc_lo, v24, v17, vcc_lo
	s_wait_dscnt 0x2
	s_clause 0x1
	global_store_b64 v[12:13], v[0:1], off
	global_store_b64 v[14:15], v[2:3], off
	s_wait_dscnt 0x1
	s_clause 0x1
	global_store_b64 v[8:9], v[4:5], off
	global_store_b64 v[10:11], v[6:7], off
	s_wait_dscnt 0x0
	global_store_b64 v[16:17], v[20:21], off
.LBB0_17:
	s_nop 0
	s_sendmsg sendmsg(MSG_DEALLOC_VGPRS)
	s_endpgm
	.section	.rodata,"a",@progbits
	.p2align	6, 0x0
	.amdhsa_kernel fft_rtc_back_len273_factors_13_3_7_wgs_52_tpt_13_sp_ip_CI_sbrr_dirReg
		.amdhsa_group_segment_fixed_size 0
		.amdhsa_private_segment_fixed_size 0
		.amdhsa_kernarg_size 88
		.amdhsa_user_sgpr_count 2
		.amdhsa_user_sgpr_dispatch_ptr 0
		.amdhsa_user_sgpr_queue_ptr 0
		.amdhsa_user_sgpr_kernarg_segment_ptr 1
		.amdhsa_user_sgpr_dispatch_id 0
		.amdhsa_user_sgpr_private_segment_size 0
		.amdhsa_wavefront_size32 1
		.amdhsa_uses_dynamic_stack 0
		.amdhsa_enable_private_segment 0
		.amdhsa_system_sgpr_workgroup_id_x 1
		.amdhsa_system_sgpr_workgroup_id_y 0
		.amdhsa_system_sgpr_workgroup_id_z 0
		.amdhsa_system_sgpr_workgroup_info 0
		.amdhsa_system_vgpr_workitem_id 0
		.amdhsa_next_free_vgpr 134
		.amdhsa_next_free_sgpr 35
		.amdhsa_reserve_vcc 1
		.amdhsa_float_round_mode_32 0
		.amdhsa_float_round_mode_16_64 0
		.amdhsa_float_denorm_mode_32 3
		.amdhsa_float_denorm_mode_16_64 3
		.amdhsa_fp16_overflow 0
		.amdhsa_workgroup_processor_mode 1
		.amdhsa_memory_ordered 1
		.amdhsa_forward_progress 0
		.amdhsa_round_robin_scheduling 0
		.amdhsa_exception_fp_ieee_invalid_op 0
		.amdhsa_exception_fp_denorm_src 0
		.amdhsa_exception_fp_ieee_div_zero 0
		.amdhsa_exception_fp_ieee_overflow 0
		.amdhsa_exception_fp_ieee_underflow 0
		.amdhsa_exception_fp_ieee_inexact 0
		.amdhsa_exception_int_div_zero 0
	.end_amdhsa_kernel
	.text
.Lfunc_end0:
	.size	fft_rtc_back_len273_factors_13_3_7_wgs_52_tpt_13_sp_ip_CI_sbrr_dirReg, .Lfunc_end0-fft_rtc_back_len273_factors_13_3_7_wgs_52_tpt_13_sp_ip_CI_sbrr_dirReg
                                        ; -- End function
	.section	.AMDGPU.csdata,"",@progbits
; Kernel info:
; codeLenInByte = 14376
; NumSgprs: 37
; NumVgprs: 134
; ScratchSize: 0
; MemoryBound: 0
; FloatMode: 240
; IeeeMode: 1
; LDSByteSize: 0 bytes/workgroup (compile time only)
; SGPRBlocks: 4
; VGPRBlocks: 16
; NumSGPRsForWavesPerEU: 37
; NumVGPRsForWavesPerEU: 134
; Occupancy: 10
; WaveLimiterHint : 1
; COMPUTE_PGM_RSRC2:SCRATCH_EN: 0
; COMPUTE_PGM_RSRC2:USER_SGPR: 2
; COMPUTE_PGM_RSRC2:TRAP_HANDLER: 0
; COMPUTE_PGM_RSRC2:TGID_X_EN: 1
; COMPUTE_PGM_RSRC2:TGID_Y_EN: 0
; COMPUTE_PGM_RSRC2:TGID_Z_EN: 0
; COMPUTE_PGM_RSRC2:TIDIG_COMP_CNT: 0
	.text
	.p2alignl 7, 3214868480
	.fill 96, 4, 3214868480
	.type	__hip_cuid_7ad2513cddb0492b,@object ; @__hip_cuid_7ad2513cddb0492b
	.section	.bss,"aw",@nobits
	.globl	__hip_cuid_7ad2513cddb0492b
__hip_cuid_7ad2513cddb0492b:
	.byte	0                               ; 0x0
	.size	__hip_cuid_7ad2513cddb0492b, 1

	.ident	"AMD clang version 19.0.0git (https://github.com/RadeonOpenCompute/llvm-project roc-6.4.0 25133 c7fe45cf4b819c5991fe208aaa96edf142730f1d)"
	.section	".note.GNU-stack","",@progbits
	.addrsig
	.addrsig_sym __hip_cuid_7ad2513cddb0492b
	.amdgpu_metadata
---
amdhsa.kernels:
  - .args:
      - .actual_access:  read_only
        .address_space:  global
        .offset:         0
        .size:           8
        .value_kind:     global_buffer
      - .offset:         8
        .size:           8
        .value_kind:     by_value
      - .actual_access:  read_only
        .address_space:  global
        .offset:         16
        .size:           8
        .value_kind:     global_buffer
      - .actual_access:  read_only
        .address_space:  global
        .offset:         24
        .size:           8
        .value_kind:     global_buffer
      - .offset:         32
        .size:           8
        .value_kind:     by_value
      - .actual_access:  read_only
        .address_space:  global
        .offset:         40
        .size:           8
        .value_kind:     global_buffer
      - .actual_access:  read_only
        .address_space:  global
        .offset:         48
        .size:           8
        .value_kind:     global_buffer
      - .offset:         56
        .size:           4
        .value_kind:     by_value
      - .actual_access:  read_only
        .address_space:  global
        .offset:         64
        .size:           8
        .value_kind:     global_buffer
      - .actual_access:  read_only
        .address_space:  global
        .offset:         72
        .size:           8
        .value_kind:     global_buffer
      - .address_space:  global
        .offset:         80
        .size:           8
        .value_kind:     global_buffer
    .group_segment_fixed_size: 0
    .kernarg_segment_align: 8
    .kernarg_segment_size: 88
    .language:       OpenCL C
    .language_version:
      - 2
      - 0
    .max_flat_workgroup_size: 52
    .name:           fft_rtc_back_len273_factors_13_3_7_wgs_52_tpt_13_sp_ip_CI_sbrr_dirReg
    .private_segment_fixed_size: 0
    .sgpr_count:     37
    .sgpr_spill_count: 0
    .symbol:         fft_rtc_back_len273_factors_13_3_7_wgs_52_tpt_13_sp_ip_CI_sbrr_dirReg.kd
    .uniform_work_group_size: 1
    .uses_dynamic_stack: false
    .vgpr_count:     134
    .vgpr_spill_count: 0
    .wavefront_size: 32
    .workgroup_processor_mode: 1
amdhsa.target:   amdgcn-amd-amdhsa--gfx1201
amdhsa.version:
  - 1
  - 2
...

	.end_amdgpu_metadata
